;; amdgpu-corpus repo=ROCm/rocFFT kind=compiled arch=gfx950 opt=O3
	.text
	.amdgcn_target "amdgcn-amd-amdhsa--gfx950"
	.amdhsa_code_object_version 6
	.protected	bluestein_single_back_len715_dim1_sp_op_CI_CI ; -- Begin function bluestein_single_back_len715_dim1_sp_op_CI_CI
	.globl	bluestein_single_back_len715_dim1_sp_op_CI_CI
	.p2align	8
	.type	bluestein_single_back_len715_dim1_sp_op_CI_CI,@function
bluestein_single_back_len715_dim1_sp_op_CI_CI: ; @bluestein_single_back_len715_dim1_sp_op_CI_CI
; %bb.0:
	s_load_dwordx4 s[4:7], s[0:1], 0x28
	v_mul_u32_u24_e32 v1, 0x3f1, v0
	v_lshrrev_b32_e32 v2, 16, v1
	v_mad_u64_u32 v[76:77], s[2:3], s2, 3, v[2:3]
	v_mov_b32_e32 v77, 0
	s_waitcnt lgkmcnt(0)
	v_cmp_gt_u64_e32 vcc, s[4:5], v[76:77]
	s_and_saveexec_b64 s[2:3], vcc
	s_cbranch_execz .LBB0_23
; %bb.1:
	v_mul_lo_u16_e32 v1, 0x41, v2
	s_mov_b32 s2, 0xaaaaaaab
	v_sub_u16_e32 v78, v0, v1
	v_mul_hi_u32 v0, v76, s2
	s_load_dwordx2 s[12:13], s[0:1], 0x0
	s_load_dwordx2 s[14:15], s[0:1], 0x38
	v_lshrrev_b32_e32 v0, 1, v0
	v_lshl_add_u32 v0, v0, 1, v0
	v_sub_u32_e32 v0, v76, v0
	v_mul_u32_u24_e32 v134, 0x2cb, v0
	v_cmp_gt_u16_e64 s[4:5], 55, v78
	v_lshlrev_b32_e32 v74, 3, v78
	v_lshlrev_b32_e32 v77, 3, v134
	s_and_saveexec_b64 s[2:3], s[4:5]
	s_cbranch_execz .LBB0_3
; %bb.2:
	s_load_dwordx2 s[8:9], s[0:1], 0x18
	v_mov_b32_e32 v0, s6
	v_mov_b32_e32 v1, s7
	;; [unrolled: 1-line block ×4, first 2 shown]
	s_waitcnt lgkmcnt(0)
	s_load_dwordx4 s[8:11], s[8:9], 0x0
	v_lshl_add_u64 v[24:25], s[12:13], 0, v[74:75]
	v_lshl_add_u32 v54, v78, 3, v77
	v_add_u32_e32 v55, v77, v74
	s_waitcnt lgkmcnt(0)
	v_mad_u64_u32 v[2:3], s[6:7], s10, v76, 0
	v_mad_u64_u32 v[4:5], s[6:7], s8, v78, 0
	v_mov_b32_e32 v6, v3
	v_mov_b32_e32 v8, v5
	v_mad_u64_u32 v[6:7], s[6:7], s11, v76, v[6:7]
	v_mov_b32_e32 v3, v6
	v_mad_u64_u32 v[6:7], s[6:7], s9, v78, v[8:9]
	v_mov_b32_e32 v5, v6
	v_lshl_add_u64 v[0:1], v[2:3], 3, v[0:1]
	v_lshl_add_u64 v[0:1], v[4:5], 3, v[0:1]
	global_load_dwordx2 v[2:3], v74, s[12:13]
	global_load_dwordx2 v[4:5], v[0:1], off
	s_mulk_i32 s9, 0x1b8
	v_mad_u64_u32 v[0:1], s[6:7], s8, v52, v[0:1]
	v_add_u32_e32 v1, s9, v1
	global_load_dwordx2 v[6:7], v74, s[12:13] offset:440
	global_load_dwordx2 v[8:9], v74, s[12:13] offset:880
	;; [unrolled: 1-line block ×9, first 2 shown]
	global_load_dwordx2 v[26:27], v[0:1], off
	v_mad_u64_u32 v[0:1], s[6:7], s8, v52, v[0:1]
	v_add_u32_e32 v1, s9, v1
	global_load_dwordx2 v[28:29], v[0:1], off
	v_mad_u64_u32 v[0:1], s[6:7], s8, v52, v[0:1]
	v_add_u32_e32 v1, s9, v1
	;; [unrolled: 3-line block ×8, first 2 shown]
	s_movk_i32 s10, 0x1000
	global_load_dwordx2 v[42:43], v[0:1], off
	v_mad_u64_u32 v[0:1], s[6:7], s8, v52, v[0:1]
	v_add_co_u32_e32 v24, vcc, s10, v24
	v_add_u32_e32 v1, s9, v1
	s_nop 0
	v_addc_co_u32_e32 v25, vcc, 0, v25, vcc
	global_load_dwordx2 v[44:45], v[0:1], off
	global_load_dwordx2 v[46:47], v[24:25], off offset:304
	global_load_dwordx2 v[48:49], v[24:25], off offset:744
	;; [unrolled: 1-line block ×3, first 2 shown]
	v_mad_u64_u32 v[0:1], s[6:7], s8, v52, v[0:1]
	v_add_u32_e32 v1, s9, v1
	global_load_dwordx2 v[24:25], v[0:1], off
	v_mad_u64_u32 v[0:1], s[6:7], s8, v52, v[0:1]
	v_add_u32_e32 v1, s9, v1
	global_load_dwordx2 v[0:1], v[0:1], off
	s_waitcnt vmcnt(24)
	v_mul_f32_e32 v53, v4, v3
	v_mul_f32_e32 v52, v5, v3
	v_fma_f32 v53, v5, v2, -v53
	v_fmac_f32_e32 v52, v4, v2
	ds_write_b64 v54, v[52:53]
	s_waitcnt vmcnt(14)
	v_mul_f32_e32 v2, v27, v7
	v_mul_f32_e32 v3, v26, v7
	v_fmac_f32_e32 v2, v26, v6
	v_fma_f32 v3, v27, v6, -v3
	s_waitcnt vmcnt(13)
	v_mul_f32_e32 v4, v29, v9
	v_mul_f32_e32 v5, v28, v9
	v_fmac_f32_e32 v4, v28, v8
	v_fma_f32 v5, v29, v8, -v5
	ds_write2_b64 v55, v[2:3], v[4:5] offset0:55 offset1:110
	s_waitcnt vmcnt(12)
	v_mul_f32_e32 v2, v31, v11
	v_mul_f32_e32 v3, v30, v11
	v_fmac_f32_e32 v2, v30, v10
	s_waitcnt vmcnt(11)
	v_mul_f32_e32 v4, v33, v13
	v_mul_f32_e32 v5, v32, v13
	v_fma_f32 v3, v31, v10, -v3
	v_fmac_f32_e32 v4, v32, v12
	v_fma_f32 v5, v33, v12, -v5
	ds_write2_b64 v55, v[2:3], v[4:5] offset0:165 offset1:220
	s_waitcnt vmcnt(10)
	v_mul_f32_e32 v2, v35, v15
	v_mul_f32_e32 v3, v34, v15
	s_waitcnt vmcnt(9)
	v_mul_f32_e32 v4, v37, v17
	v_mul_f32_e32 v5, v36, v17
	v_fmac_f32_e32 v2, v34, v14
	v_fma_f32 v3, v35, v14, -v3
	v_fmac_f32_e32 v4, v36, v16
	v_fma_f32 v5, v37, v16, -v5
	v_add_u32_e32 v6, 0x800, v55
	ds_write2_b64 v6, v[2:3], v[4:5] offset0:19 offset1:74
	s_waitcnt vmcnt(8)
	v_mul_f32_e32 v2, v39, v19
	v_mul_f32_e32 v3, v38, v19
	s_waitcnt vmcnt(7)
	v_mul_f32_e32 v4, v41, v21
	v_mul_f32_e32 v5, v40, v21
	v_fmac_f32_e32 v2, v38, v18
	v_fma_f32 v3, v39, v18, -v3
	v_fmac_f32_e32 v4, v40, v20
	v_fma_f32 v5, v41, v20, -v5
	ds_write2_b64 v6, v[2:3], v[4:5] offset0:129 offset1:184
	s_waitcnt vmcnt(6)
	v_mul_f32_e32 v2, v43, v23
	v_mul_f32_e32 v3, v42, v23
	s_waitcnt vmcnt(4)
	v_mul_f32_e32 v4, v45, v47
	v_mul_f32_e32 v5, v44, v47
	v_fmac_f32_e32 v2, v42, v22
	v_fma_f32 v3, v43, v22, -v3
	v_fmac_f32_e32 v4, v44, v46
	v_fma_f32 v5, v45, v46, -v5
	v_add_u32_e32 v6, 0xc00, v55
	ds_write2_b64 v6, v[2:3], v[4:5] offset0:111 offset1:166
	s_waitcnt vmcnt(1)
	v_mul_f32_e32 v2, v25, v49
	v_mul_f32_e32 v3, v24, v49
	s_waitcnt vmcnt(0)
	v_mul_f32_e32 v4, v1, v51
	v_fmac_f32_e32 v4, v0, v50
	v_mul_f32_e32 v0, v0, v51
	v_fmac_f32_e32 v2, v24, v48
	v_fma_f32 v3, v25, v48, -v3
	v_fma_f32 v5, v1, v50, -v0
	v_add_u32_e32 v0, 0x1000, v55
	ds_write2_b64 v0, v[2:3], v[4:5] offset0:93 offset1:148
.LBB0_3:
	s_or_b64 exec, exec, s[2:3]
	v_mov_b64_e32 v[0:1], 0
	s_waitcnt lgkmcnt(0)
	s_barrier
	s_waitcnt lgkmcnt(0)
                                        ; implicit-def: $vgpr6
                                        ; implicit-def: $vgpr8
                                        ; implicit-def: $vgpr14
                                        ; implicit-def: $vgpr24
                                        ; implicit-def: $vgpr30
                                        ; implicit-def: $vgpr46
	s_and_saveexec_b64 s[2:3], s[4:5]
	s_cbranch_execz .LBB0_5
; %bb.4:
	v_lshl_add_u32 v16, v134, 3, v74
	v_add_u32_e32 v4, 0x400, v16
	v_add_u32_e32 v8, 0x800, v16
	ds_read2_b64 v[0:3], v16 offset1:55
	ds_read2_b64 v[12:15], v4 offset0:92 offset1:147
	ds_read2_b64 v[4:7], v8 offset0:74 offset1:129
	;; [unrolled: 1-line block ×4, first 2 shown]
	v_add_u32_e32 v17, 0x1000, v16
	ds_read2_b64 v[24:27], v17 offset0:38 offset1:93
	ds_read_b64 v[46:47], v16 offset:5280
.LBB0_5:
	s_or_b64 exec, exec, s[2:3]
	s_waitcnt lgkmcnt(0)
	v_pk_add_f32 v[38:39], v[2:3], v[46:47] neg_lo:[0,1] neg_hi:[0,1]
	s_mov_b32 s26, 0xbf52af12
	v_pk_add_f32 v[34:35], v[46:47], v[2:3]
	v_pk_add_f32 v[32:33], v[28:29], v[26:27] neg_lo:[0,1] neg_hi:[0,1]
	s_mov_b32 s2, 0x3f116cb1
	v_pk_mul_f32 v[16:17], v[38:39], s[26:27] op_sel_hi:[1,0]
	s_mov_b32 s20, 0xbf6f5d39
	v_pk_add_f32 v[18:19], v[26:27], v[28:29]
	v_pk_fma_f32 v[56:57], v[34:35], s[2:3], v[16:17] op_sel:[0,0,1] op_sel_hi:[1,0,0]
	v_pk_fma_f32 v[58:59], v[34:35], s[2:3], v[16:17] op_sel:[0,0,1] op_sel_hi:[1,0,0] neg_lo:[0,0,1] neg_hi:[0,0,1]
	s_mov_b32 s16, 0xbeb58ec6
	v_pk_mul_f32 v[20:21], v[32:33], s[20:21] op_sel_hi:[1,0]
	v_mov_b32_e32 v16, v56
	v_mov_b32_e32 v17, v59
	v_pk_fma_f32 v[60:61], v[18:19], s[16:17], v[20:21] op_sel:[0,0,1] op_sel_hi:[1,0,0]
	v_pk_fma_f32 v[62:63], v[18:19], s[16:17], v[20:21] op_sel:[0,0,1] op_sel_hi:[1,0,0] neg_lo:[0,0,1] neg_hi:[0,0,1]
	s_mov_b32 s18, 0xbe750f2a
	v_pk_add_f32 v[44:45], v[30:31], v[24:25] neg_lo:[0,1] neg_hi:[0,1]
	v_pk_add_f32 v[16:17], v[16:17], v[0:1]
	v_mov_b32_e32 v20, v60
	v_mov_b32_e32 v21, v63
	s_mov_b32 s10, 0xbf788fa5
	v_pk_add_f32 v[42:43], v[24:25], v[30:31]
	v_pk_add_f32 v[16:17], v[20:21], v[16:17]
	v_pk_mul_f32 v[20:21], v[44:45], s[18:19] op_sel_hi:[1,0]
	v_pk_add_f32 v[40:41], v[12:13], v[10:11] neg_lo:[0,1] neg_hi:[0,1]
	v_pk_fma_f32 v[64:65], v[42:43], s[10:11], v[20:21] op_sel:[0,0,1] op_sel_hi:[1,0,0]
	v_pk_fma_f32 v[66:67], v[42:43], s[10:11], v[20:21] op_sel:[0,0,1] op_sel_hi:[1,0,0] neg_lo:[0,0,1] neg_hi:[0,0,1]
	v_mov_b32_e32 v20, v64
	v_mov_b32_e32 v21, v67
	s_mov_b32 s36, 0x3f29c268
	v_pk_add_f32 v[36:37], v[10:11], v[12:13]
	v_pk_add_f32 v[16:17], v[20:21], v[16:17]
	s_mov_b32 s24, 0xbf3f9e67
	v_pk_mul_f32 v[20:21], v[40:41], s[36:37] op_sel_hi:[1,0]
	s_mov_b32 s28, 0x3f7e222b
	v_pk_fma_f32 v[68:69], v[36:37], s[24:25], v[20:21] op_sel:[0,0,1] op_sel_hi:[1,0,0]
	v_pk_fma_f32 v[70:71], v[36:37], s[24:25], v[20:21] op_sel:[0,0,1] op_sel_hi:[1,0,0] neg_lo:[0,0,1] neg_hi:[0,0,1]
	v_mov_b32_e32 v20, v68
	v_mov_b32_e32 v21, v71
	v_pk_add_f32 v[50:51], v[14:15], v[8:9] neg_lo:[0,1] neg_hi:[0,1]
	v_pk_add_f32 v[16:17], v[20:21], v[16:17]
	s_mov_b32 s22, 0x3df6dbef
	v_pk_add_f32 v[48:49], v[8:9], v[14:15]
	v_pk_mul_f32 v[20:21], v[50:51], s[28:29] op_sel_hi:[1,0]
	s_mov_b32 s40, 0xbf7e222b
	v_pk_fma_f32 v[72:73], v[48:49], s[22:23], v[20:21] op_sel:[0,0,1] op_sel_hi:[1,0,0]
	v_pk_fma_f32 v[80:81], v[48:49], s[22:23], v[20:21] op_sel:[0,0,1] op_sel_hi:[1,0,0] neg_lo:[0,0,1] neg_hi:[0,0,1]
	v_mov_b32_e32 v20, v72
	v_mov_b32_e32 v21, v81
	v_pk_add_f32 v[16:17], v[20:21], v[16:17]
	v_pk_mul_f32 v[20:21], v[38:39], s[40:41] op_sel_hi:[1,0]
	s_mov_b32 s6, 0x3f6f5d39
	v_pk_fma_f32 v[106:107], v[34:35], s[22:23], v[20:21] op_sel:[0,0,1] op_sel_hi:[1,0,0]
	v_pk_fma_f32 v[82:83], v[34:35], s[22:23], v[20:21] op_sel:[0,0,1] op_sel_hi:[1,0,0] neg_lo:[0,0,1] neg_hi:[0,0,1]
	v_pk_mul_f32 v[20:21], v[32:33], s[18:19] op_sel_hi:[1,0]
	s_mov_b32 s34, 0x3eedf032
	v_pk_fma_f32 v[108:109], v[18:19], s[10:11], v[20:21] op_sel:[0,0,1] op_sel_hi:[1,0,0]
	v_pk_fma_f32 v[84:85], v[18:19], s[10:11], v[20:21] op_sel:[0,0,1] op_sel_hi:[1,0,0] neg_lo:[0,0,1] neg_hi:[0,0,1]
	v_mov_b32_e32 v20, v106
	v_mov_b32_e32 v21, v83
	v_pk_add_f32 v[20:21], v[20:21], v[0:1]
	v_mov_b32_e32 v22, v108
	v_mov_b32_e32 v23, v85
	v_pk_add_f32 v[20:21], v[22:23], v[20:21]
	v_pk_mul_f32 v[22:23], v[44:45], s[6:7] op_sel_hi:[1,0]
	s_mov_b32 s30, 0x3f62ad3f
	v_pk_fma_f32 v[86:87], v[42:43], s[16:17], v[22:23] op_sel:[0,0,1] op_sel_hi:[1,0,0]
	v_pk_fma_f32 v[88:89], v[42:43], s[16:17], v[22:23] op_sel:[0,0,1] op_sel_hi:[1,0,0] neg_lo:[0,0,1] neg_hi:[0,0,1]
	v_mov_b32_e32 v22, v86
	v_mov_b32_e32 v23, v89
	v_pk_add_f32 v[20:21], v[22:23], v[20:21]
	v_pk_mul_f32 v[22:23], v[40:41], s[34:35] op_sel_hi:[1,0]
	v_pk_add_f32 v[54:55], v[4:5], v[6:7] neg_lo:[0,1] neg_hi:[0,1]
	v_pk_fma_f32 v[90:91], v[36:37], s[30:31], v[22:23] op_sel:[0,0,1] op_sel_hi:[1,0,0]
	v_pk_fma_f32 v[92:93], v[36:37], s[30:31], v[22:23] op_sel:[0,0,1] op_sel_hi:[1,0,0] neg_lo:[0,0,1] neg_hi:[0,0,1]
	v_mov_b32_e32 v22, v90
	v_mov_b32_e32 v23, v93
	v_pk_add_f32 v[20:21], v[22:23], v[20:21]
	v_pk_mul_f32 v[22:23], v[50:51], s[26:27] op_sel_hi:[1,0]
	v_pk_add_f32 v[52:53], v[6:7], v[4:5]
	v_pk_fma_f32 v[94:95], v[48:49], s[2:3], v[22:23] op_sel:[0,0,1] op_sel_hi:[1,0,0]
	v_pk_fma_f32 v[96:97], v[48:49], s[2:3], v[22:23] op_sel:[0,0,1] op_sel_hi:[1,0,0] neg_lo:[0,0,1] neg_hi:[0,0,1]
	v_mov_b32_e32 v22, v94
	v_mov_b32_e32 v23, v97
	v_pk_add_f32 v[20:21], v[22:23], v[20:21]
	v_pk_mul_f32 v[22:23], v[54:55], s[34:35] op_sel_hi:[1,0]
	s_mov_b32 s38, 0xbf29c268
	v_pk_fma_f32 v[102:103], v[52:53], s[30:31], v[22:23] op_sel:[0,0,1] op_sel_hi:[1,0,0]
	v_pk_fma_f32 v[104:105], v[52:53], s[30:31], v[22:23] op_sel:[0,0,1] op_sel_hi:[1,0,0] neg_lo:[0,0,1] neg_hi:[0,0,1]
	v_mov_b32_e32 v22, v102
	v_mov_b32_e32 v23, v105
	v_pk_add_f32 v[22:23], v[22:23], v[16:17]
	v_pk_mul_f32 v[16:17], v[54:55], s[38:39] op_sel_hi:[1,0]
	s_mov_b32 s6, 0xbeedf032
	v_pk_fma_f32 v[98:99], v[52:53], s[24:25], v[16:17] op_sel:[0,0,1] op_sel_hi:[1,0,0]
	v_pk_fma_f32 v[100:101], v[52:53], s[24:25], v[16:17] op_sel:[0,0,1] op_sel_hi:[1,0,0] neg_lo:[0,0,1] neg_hi:[0,0,1]
	v_mov_b32_e32 v16, v98
	v_mov_b32_e32 v17, v101
	v_pk_add_f32 v[20:21], v[16:17], v[20:21]
	v_pk_mul_f32 v[16:17], v[38:39], s[6:7] op_sel_hi:[1,0]
	v_pk_mul_f32 v[116:117], v[32:33], s[26:27] op_sel_hi:[1,0]
	v_pk_fma_f32 v[110:111], v[34:35], s[30:31], v[16:17] op_sel:[0,0,1] op_sel_hi:[1,0,0]
	v_pk_fma_f32 v[112:113], v[34:35], s[30:31], v[16:17] op_sel:[0,0,1] op_sel_hi:[1,0,0] neg_lo:[0,0,1] neg_hi:[0,0,1]
	v_mov_b32_e32 v16, v110
	v_mov_b32_e32 v17, v113
	v_pk_fma_f32 v[114:115], v[18:19], s[2:3], v[116:117] op_sel:[0,0,1] op_sel_hi:[1,0,0]
	v_pk_fma_f32 v[116:117], v[18:19], s[2:3], v[116:117] op_sel:[0,0,1] op_sel_hi:[1,0,0] neg_lo:[0,0,1] neg_hi:[0,0,1]
	v_mov_b32_e32 v118, v114
	v_mov_b32_e32 v119, v117
	v_pk_add_f32 v[16:17], v[16:17], v[0:1]
	v_pk_mul_f32 v[120:121], v[44:45], s[40:41] op_sel_hi:[1,0]
	v_pk_add_f32 v[16:17], v[118:119], v[16:17]
	v_pk_fma_f32 v[118:119], v[42:43], s[22:23], v[120:121] op_sel:[0,0,1] op_sel_hi:[1,0,0]
	v_pk_fma_f32 v[120:121], v[42:43], s[22:23], v[120:121] op_sel:[0,0,1] op_sel_hi:[1,0,0] neg_lo:[0,0,1] neg_hi:[0,0,1]
	v_mov_b32_e32 v122, v118
	v_mov_b32_e32 v123, v121
	v_pk_mul_f32 v[124:125], v[40:41], s[20:21] op_sel_hi:[1,0]
	v_pk_add_f32 v[16:17], v[122:123], v[16:17]
	v_pk_fma_f32 v[122:123], v[36:37], s[16:17], v[124:125] op_sel:[0,0,1] op_sel_hi:[1,0,0]
	v_pk_fma_f32 v[124:125], v[36:37], s[16:17], v[124:125] op_sel:[0,0,1] op_sel_hi:[1,0,0] neg_lo:[0,0,1] neg_hi:[0,0,1]
	v_mov_b32_e32 v126, v122
	v_mov_b32_e32 v127, v125
	v_pk_mul_f32 v[128:129], v[50:51], s[38:39] op_sel_hi:[1,0]
	v_pk_add_f32 v[16:17], v[126:127], v[16:17]
	v_pk_fma_f32 v[126:127], v[48:49], s[24:25], v[128:129] op_sel:[0,0,1] op_sel_hi:[1,0,0]
	v_pk_fma_f32 v[128:129], v[48:49], s[24:25], v[128:129] op_sel:[0,0,1] op_sel_hi:[1,0,0] neg_lo:[0,0,1] neg_hi:[0,0,1]
	s_load_dwordx2 s[8:9], s[0:1], 0x20
	s_load_dwordx2 s[6:7], s[0:1], 0x8
	v_mov_b32_e32 v130, v126
	v_mov_b32_e32 v131, v129
	v_pk_mul_f32 v[132:133], v[54:55], s[18:19] op_sel_hi:[1,0]
	v_pk_add_f32 v[16:17], v[130:131], v[16:17]
	v_pk_fma_f32 v[130:131], v[52:53], s[10:11], v[132:133] op_sel:[0,0,1] op_sel_hi:[1,0,0]
	v_pk_fma_f32 v[132:133], v[52:53], s[10:11], v[132:133] op_sel:[0,0,1] op_sel_hi:[1,0,0] neg_lo:[0,0,1] neg_hi:[0,0,1]
	v_mov_b32_e32 v136, v130
	v_mov_b32_e32 v137, v133
	v_pk_add_f32 v[16:17], v[136:137], v[16:17]
	v_mul_lo_u16_e32 v183, 13, v78
	s_waitcnt lgkmcnt(0)
	s_barrier
	s_and_saveexec_b64 s[0:1], s[4:5]
	s_cbranch_execz .LBB0_7
; %bb.6:
	v_pk_add_f32 v[2:3], v[2:3], v[0:1]
	v_mov_b32_e32 v113, v111
	v_pk_add_f32 v[2:3], v[28:29], v[2:3]
	v_mov_b32_e32 v117, v115
	v_pk_add_f32 v[2:3], v[30:31], v[2:3]
	v_mov_b32_e32 v121, v119
	v_pk_add_f32 v[2:3], v[12:13], v[2:3]
	v_mov_b32_e32 v125, v123
	v_pk_add_f32 v[2:3], v[14:15], v[2:3]
	v_mov_b32_e32 v129, v127
	v_pk_add_f32 v[2:3], v[4:5], v[2:3]
	v_pk_add_f32 v[4:5], v[112:113], v[0:1]
	;; [unrolled: 1-line block ×11, first 2 shown]
	v_mov_b32_e32 v133, v131
	v_mov_b32_e32 v83, v107
	v_add_lshl_u32 v75, v134, v183, 3
	v_pk_add_f32 v[2:3], v[46:47], v[2:3]
	v_pk_add_f32 v[4:5], v[132:133], v[4:5]
	v_mov_b32_e32 v59, v57
	v_mov_b32_e32 v85, v109
	ds_write2_b64 v75, v[2:3], v[4:5] offset1:1
	v_pk_add_f32 v[2:3], v[58:59], v[0:1]
	v_mov_b32_e32 v63, v61
	v_pk_add_f32 v[4:5], v[82:83], v[0:1]
	v_pk_add_f32 v[2:3], v[62:63], v[2:3]
	v_mov_b32_e32 v67, v65
	v_pk_add_f32 v[4:5], v[84:85], v[4:5]
	v_mov_b32_e32 v89, v87
	;; [unrolled: 2-line block ×8, first 2 shown]
	v_pk_add_f32 v[2:3], v[104:105], v[2:3]
	v_pk_add_f32 v[4:5], v[100:101], v[4:5]
	ds_write2_b64 v75, v[2:3], v[4:5] offset0:2 offset1:3
	v_pk_mul_f32 v[2:3], v[38:39], s[20:21] op_sel_hi:[1,0]
	v_pk_mul_f32 v[8:9], v[32:33], s[36:37] op_sel_hi:[1,0]
	v_pk_fma_f32 v[4:5], v[34:35], s[16:17], v[2:3] op_sel:[0,0,1] op_sel_hi:[1,0,0] neg_lo:[0,0,1] neg_hi:[0,0,1]
	v_pk_fma_f32 v[2:3], v[34:35], s[16:17], v[2:3] op_sel:[0,0,1] op_sel_hi:[1,0,0]
	v_mov_b32_e32 v6, v4
	v_mov_b32_e32 v7, v3
	v_pk_fma_f32 v[10:11], v[18:19], s[24:25], v[8:9] op_sel:[0,0,1] op_sel_hi:[1,0,0] neg_lo:[0,0,1] neg_hi:[0,0,1]
	v_pk_fma_f32 v[8:9], v[18:19], s[24:25], v[8:9] op_sel:[0,0,1] op_sel_hi:[1,0,0]
	v_pk_add_f32 v[6:7], v[6:7], v[0:1]
	v_mov_b32_e32 v12, v10
	v_mov_b32_e32 v13, v9
	v_pk_add_f32 v[6:7], v[12:13], v[6:7]
	v_pk_mul_f32 v[12:13], v[44:45], s[34:35] op_sel_hi:[1,0]
	s_mov_b32 s36, 0x3e750f2a
	v_pk_fma_f32 v[14:15], v[42:43], s[30:31], v[12:13] op_sel:[0,0,1] op_sel_hi:[1,0,0] neg_lo:[0,0,1] neg_hi:[0,0,1]
	v_pk_fma_f32 v[12:13], v[42:43], s[30:31], v[12:13] op_sel:[0,0,1] op_sel_hi:[1,0,0]
	v_mov_b32_e32 v24, v14
	v_mov_b32_e32 v25, v13
	v_pk_add_f32 v[6:7], v[24:25], v[6:7]
	v_pk_mul_f32 v[24:25], v[40:41], s[40:41] op_sel_hi:[1,0]
	s_mov_b32 s40, 0x3f52af12
	v_pk_fma_f32 v[26:27], v[36:37], s[22:23], v[24:25] op_sel:[0,0,1] op_sel_hi:[1,0,0] neg_lo:[0,0,1] neg_hi:[0,0,1]
	v_pk_fma_f32 v[24:25], v[36:37], s[22:23], v[24:25] op_sel:[0,0,1] op_sel_hi:[1,0,0]
	v_mov_b32_e32 v28, v26
	v_mov_b32_e32 v29, v25
	v_pk_add_f32 v[6:7], v[28:29], v[6:7]
	v_pk_mul_f32 v[28:29], v[50:51], s[36:37] op_sel_hi:[1,0]
	v_pk_mul_f32 v[64:65], v[32:33], s[28:29] op_sel_hi:[1,0]
	v_pk_fma_f32 v[30:31], v[48:49], s[10:11], v[28:29] op_sel:[0,0,1] op_sel_hi:[1,0,0] neg_lo:[0,0,1] neg_hi:[0,0,1]
	v_pk_fma_f32 v[28:29], v[48:49], s[10:11], v[28:29] op_sel:[0,0,1] op_sel_hi:[1,0,0]
	v_mov_b32_e32 v46, v30
	v_mov_b32_e32 v47, v29
	v_pk_add_f32 v[6:7], v[46:47], v[6:7]
	v_pk_mul_f32 v[46:47], v[54:55], s[40:41] op_sel_hi:[1,0]
	v_pk_fma_f32 v[66:67], v[18:19], s[22:23], v[64:65] op_sel:[0,0,1] op_sel_hi:[1,0,0] neg_lo:[0,0,1] neg_hi:[0,0,1]
	v_pk_fma_f32 v[56:57], v[52:53], s[2:3], v[46:47] op_sel:[0,0,1] op_sel_hi:[1,0,0] neg_lo:[0,0,1] neg_hi:[0,0,1]
	v_pk_fma_f32 v[46:47], v[52:53], s[2:3], v[46:47] op_sel:[0,0,1] op_sel_hi:[1,0,0]
	v_mov_b32_e32 v58, v56
	v_mov_b32_e32 v59, v47
	v_pk_add_f32 v[6:7], v[58:59], v[6:7]
	v_pk_mul_f32 v[58:59], v[38:39], s[38:39] op_sel_hi:[1,0]
	v_pk_fma_f32 v[64:65], v[18:19], s[22:23], v[64:65] op_sel:[0,0,1] op_sel_hi:[1,0,0]
	v_pk_fma_f32 v[60:61], v[34:35], s[24:25], v[58:59] op_sel:[0,0,1] op_sel_hi:[1,0,0] neg_lo:[0,0,1] neg_hi:[0,0,1]
	v_pk_fma_f32 v[58:59], v[34:35], s[24:25], v[58:59] op_sel:[0,0,1] op_sel_hi:[1,0,0]
	v_mov_b32_e32 v62, v60
	v_mov_b32_e32 v63, v59
	v_pk_add_f32 v[62:63], v[62:63], v[0:1]
	v_mov_b32_e32 v68, v66
	v_mov_b32_e32 v69, v65
	v_pk_add_f32 v[62:63], v[68:69], v[62:63]
	v_pk_mul_f32 v[68:69], v[44:45], s[26:27] op_sel_hi:[1,0]
	v_pk_mul_f32 v[32:33], v[32:33], s[34:35] op_sel_hi:[1,0]
	v_pk_fma_f32 v[70:71], v[42:43], s[2:3], v[68:69] op_sel:[0,0,1] op_sel_hi:[1,0,0] neg_lo:[0,0,1] neg_hi:[0,0,1]
	v_pk_fma_f32 v[68:69], v[42:43], s[2:3], v[68:69] op_sel:[0,0,1] op_sel_hi:[1,0,0]
	v_mov_b32_e32 v72, v70
	v_mov_b32_e32 v73, v69
	v_pk_add_f32 v[62:63], v[72:73], v[62:63]
	v_pk_mul_f32 v[72:73], v[40:41], s[36:37] op_sel_hi:[1,0]
	v_pk_mul_f32 v[40:41], v[40:41], s[40:41] op_sel_hi:[1,0]
	v_pk_fma_f32 v[80:81], v[36:37], s[10:11], v[72:73] op_sel:[0,0,1] op_sel_hi:[1,0,0] neg_lo:[0,0,1] neg_hi:[0,0,1]
	v_pk_fma_f32 v[72:73], v[36:37], s[10:11], v[72:73] op_sel:[0,0,1] op_sel_hi:[1,0,0]
	v_mov_b32_e32 v82, v80
	v_mov_b32_e32 v83, v73
	v_pk_add_f32 v[62:63], v[82:83], v[62:63]
	v_pk_mul_f32 v[82:83], v[50:51], s[34:35] op_sel_hi:[1,0]
	v_mov_b32_e32 v59, v61
	v_pk_fma_f32 v[84:85], v[48:49], s[30:31], v[82:83] op_sel:[0,0,1] op_sel_hi:[1,0,0] neg_lo:[0,0,1] neg_hi:[0,0,1]
	v_pk_fma_f32 v[82:83], v[48:49], s[30:31], v[82:83] op_sel:[0,0,1] op_sel_hi:[1,0,0]
	v_mov_b32_e32 v86, v84
	v_mov_b32_e32 v87, v83
	v_pk_add_f32 v[62:63], v[86:87], v[62:63]
	v_pk_mul_f32 v[86:87], v[54:55], s[20:21] op_sel_hi:[1,0]
	v_mov_b32_e32 v3, v5
	v_pk_fma_f32 v[88:89], v[52:53], s[16:17], v[86:87] op_sel:[0,0,1] op_sel_hi:[1,0,0] neg_lo:[0,0,1] neg_hi:[0,0,1]
	v_pk_fma_f32 v[86:87], v[52:53], s[16:17], v[86:87] op_sel:[0,0,1] op_sel_hi:[1,0,0]
	v_mov_b32_e32 v90, v88
	v_mov_b32_e32 v91, v87
	v_pk_add_f32 v[62:63], v[90:91], v[62:63]
	ds_write2_b64 v75, v[6:7], v[62:63] offset0:4 offset1:5
	v_pk_mul_f32 v[6:7], v[38:39], s[18:19] op_sel_hi:[1,0]
	v_pk_fma_f32 v[62:63], v[18:19], s[30:31], v[32:33] op_sel:[0,0,1] op_sel_hi:[1,0,0] neg_lo:[0,0,1] neg_hi:[0,0,1]
	v_pk_fma_f32 v[38:39], v[34:35], s[10:11], v[6:7] op_sel:[0,0,1] op_sel_hi:[1,0,0] neg_lo:[0,0,1] neg_hi:[0,0,1]
	v_pk_fma_f32 v[6:7], v[34:35], s[10:11], v[6:7] op_sel:[0,0,1] op_sel_hi:[1,0,0]
	v_mov_b32_e32 v34, v38
	v_mov_b32_e32 v35, v7
	v_pk_fma_f32 v[18:19], v[18:19], s[30:31], v[32:33] op_sel:[0,0,1] op_sel_hi:[1,0,0]
	v_pk_add_f32 v[34:35], v[34:35], v[0:1]
	v_mov_b32_e32 v32, v62
	v_mov_b32_e32 v33, v19
	v_pk_add_f32 v[32:33], v[32:33], v[34:35]
	v_pk_mul_f32 v[34:35], v[44:45], s[38:39] op_sel_hi:[1,0]
	v_mov_b32_e32 v7, v39
	v_pk_fma_f32 v[44:45], v[42:43], s[24:25], v[34:35] op_sel:[0,0,1] op_sel_hi:[1,0,0] neg_lo:[0,0,1] neg_hi:[0,0,1]
	v_pk_fma_f32 v[34:35], v[42:43], s[24:25], v[34:35] op_sel:[0,0,1] op_sel_hi:[1,0,0]
	v_mov_b32_e32 v42, v44
	v_mov_b32_e32 v43, v35
	v_pk_add_f32 v[32:33], v[42:43], v[32:33]
	v_pk_fma_f32 v[42:43], v[36:37], s[2:3], v[40:41] op_sel:[0,0,1] op_sel_hi:[1,0,0] neg_lo:[0,0,1] neg_hi:[0,0,1]
	v_pk_fma_f32 v[36:37], v[36:37], s[2:3], v[40:41] op_sel:[0,0,1] op_sel_hi:[1,0,0]
	v_mov_b32_e32 v40, v42
	v_mov_b32_e32 v41, v37
	v_pk_add_f32 v[32:33], v[40:41], v[32:33]
	v_pk_mul_f32 v[40:41], v[50:51], s[20:21] op_sel_hi:[1,0]
	v_pk_add_f32 v[6:7], v[6:7], v[0:1]
	v_pk_fma_f32 v[50:51], v[48:49], s[16:17], v[40:41] op_sel:[0,0,1] op_sel_hi:[1,0,0] neg_lo:[0,0,1] neg_hi:[0,0,1]
	v_pk_fma_f32 v[40:41], v[48:49], s[16:17], v[40:41] op_sel:[0,0,1] op_sel_hi:[1,0,0]
	v_mov_b32_e32 v19, v63
	v_mov_b32_e32 v48, v50
	;; [unrolled: 1-line block ×3, first 2 shown]
	v_pk_add_f32 v[6:7], v[18:19], v[6:7]
	v_mov_b32_e32 v35, v45
	v_pk_add_f32 v[32:33], v[48:49], v[32:33]
	v_pk_mul_f32 v[48:49], v[54:55], s[28:29] op_sel_hi:[1,0]
	v_pk_add_f32 v[6:7], v[34:35], v[6:7]
	v_mov_b32_e32 v37, v43
	v_pk_fma_f32 v[54:55], v[52:53], s[22:23], v[48:49] op_sel:[0,0,1] op_sel_hi:[1,0,0] neg_lo:[0,0,1] neg_hi:[0,0,1]
	v_pk_fma_f32 v[48:49], v[52:53], s[22:23], v[48:49] op_sel:[0,0,1] op_sel_hi:[1,0,0]
	v_pk_add_f32 v[6:7], v[36:37], v[6:7]
	v_mov_b32_e32 v41, v51
	v_mov_b32_e32 v52, v54
	;; [unrolled: 1-line block ×3, first 2 shown]
	v_pk_add_f32 v[6:7], v[40:41], v[6:7]
	v_mov_b32_e32 v49, v55
	v_pk_add_f32 v[32:33], v[52:53], v[32:33]
	v_pk_add_f32 v[6:7], v[48:49], v[6:7]
	ds_write2_b64 v75, v[32:33], v[6:7] offset0:6 offset1:7
	v_pk_add_f32 v[6:7], v[58:59], v[0:1]
	v_mov_b32_e32 v65, v67
	v_pk_add_f32 v[0:1], v[2:3], v[0:1]
	v_mov_b32_e32 v9, v11
	;; [unrolled: 2-line block ×10, first 2 shown]
	v_pk_add_f32 v[6:7], v[86:87], v[6:7]
	v_pk_add_f32 v[0:1], v[46:47], v[0:1]
	ds_write2_b64 v75, v[6:7], v[0:1] offset0:8 offset1:9
	ds_write2_b64 v75, v[20:21], v[22:23] offset0:10 offset1:11
	ds_write_b64 v75, v[16:17] offset:96
.LBB0_7:
	s_or_b64 exec, exec, s[0:1]
	v_add_lshl_u32 v79, v134, v78, 3
	v_add_u32_e32 v0, 0x800, v79
	s_waitcnt lgkmcnt(0)
	s_barrier
	ds_read2_b64 v[24:27], v79 offset1:65
	ds_read2_b64 v[50:53], v79 offset0:143 offset1:208
	ds_read2_b64 v[44:47], v0 offset0:30 offset1:95
	;; [unrolled: 1-line block ×3, first 2 shown]
	v_add_u32_e32 v0, 0x1000, v79
	ds_read2_b64 v[28:31], v0 offset0:60 offset1:125
	v_cmp_gt_u16_e64 s[2:3], 13, v78
                                        ; implicit-def: $vgpr54
                                        ; implicit-def: $vgpr48
                                        ; implicit-def: $vgpr56
	s_and_saveexec_b64 s[0:1], s[2:3]
	s_cbranch_execz .LBB0_9
; %bb.8:
	v_add_u32_e32 v1, 0xc00, v79
	v_add_u32_e32 v0, 0x400, v79
	ds_read2_b64 v[16:19], v1 offset0:32 offset1:175
	ds_read_b64 v[48:49], v79 offset:5616
	ds_read2_b64 v[20:23], v0 offset0:2 offset1:145
	s_waitcnt lgkmcnt(2)
	v_mov_b32_e32 v54, v19
	s_waitcnt lgkmcnt(1)
	v_mov_b32_e32 v56, v49
.LBB0_9:
	s_or_b64 exec, exec, s[0:1]
	s_movk_i32 s1, 0x4f
	v_mul_lo_u16_sdwa v0, v78, s1 dst_sel:DWORD dst_unused:UNUSED_PAD src0_sel:BYTE_0 src1_sel:DWORD
	v_lshrrev_b16_e32 v19, 10, v0
	v_mul_lo_u16_e32 v0, 13, v19
	v_sub_u16_e32 v32, v78, v0
	v_mov_b32_e32 v33, 5
	v_lshlrev_b32_sdwa v0, v33, v32 dst_sel:DWORD dst_unused:UNUSED_PAD src0_sel:DWORD src1_sel:BYTE_0
	global_load_dwordx4 v[8:11], v0, s[6:7] offset:16
	global_load_dwordx4 v[12:15], v0, s[6:7]
	v_add_u16_e32 v0, 0x82, v78
	v_mul_lo_u16_sdwa v1, v0, s1 dst_sel:DWORD dst_unused:UNUSED_PAD src0_sel:BYTE_0 src1_sel:DWORD
	v_lshrrev_b16_e32 v1, 10, v1
	v_mul_lo_u16_e32 v1, 13, v1
	v_sub_u16_e32 v182, v0, v1
	v_lshlrev_b16_e32 v0, 2, v182
	v_and_b32_e32 v0, 0xfc, v0
	v_lshlrev_b32_e32 v34, 3, v0
	global_load_dwordx4 v[4:7], v34, s[6:7]
	global_load_dwordx4 v[0:3], v34, s[6:7] offset:16
	v_add_u16_e32 v34, 0x41, v78
	v_mov_b32_e32 v60, v17
	v_mul_lo_u16_sdwa v17, v34, s1 dst_sel:DWORD dst_unused:UNUSED_PAD src0_sel:BYTE_0 src1_sel:DWORD
	v_lshrrev_b16_e32 v75, 10, v17
	v_mul_lo_u16_e32 v17, 13, v75
	v_sub_u16_e32 v84, v34, v17
	v_mul_u32_u24_e32 v19, 0x41, v19
	v_lshlrev_b32_sdwa v17, v33, v84 dst_sel:DWORD dst_unused:UNUSED_PAD src0_sel:DWORD src1_sel:BYTE_0
	s_load_dwordx4 s[8:11], s[8:9], 0x0
	v_add_u32_sdwa v19, v19, v32 dst_sel:DWORD dst_unused:UNUSED_PAD src0_sel:DWORD src1_sel:BYTE_0
	global_load_dwordx4 v[32:35], v17, s[6:7] offset:16
	global_load_dwordx4 v[36:39], v17, s[6:7]
	s_waitcnt lgkmcnt(0)
	v_mov_b32_e32 v58, v23
	v_add_lshl_u32 v184, v134, v19, 3
	s_mov_b32 s16, 0x3f737871
	s_mov_b32 s18, 0x3f167918
	s_mov_b32 s0, 0x3e9e377a
	s_barrier
	s_waitcnt vmcnt(5)
	v_pk_mul_f32 v[66:67], v[40:41], v[8:9] op_sel:[0,1]
	s_waitcnt vmcnt(4)
	v_pk_mul_f32 v[62:63], v[50:51], v[12:13] op_sel:[0,1]
	v_mov_b32_e32 v64, v15
	v_pk_fma_f32 v[68:69], v[50:51], v[12:13], v[62:63] op_sel:[0,0,1] op_sel_hi:[1,1,0] neg_lo:[0,0,1] neg_hi:[0,0,1]
	v_pk_fma_f32 v[50:51], v[50:51], v[12:13], v[62:63] op_sel:[0,0,1] op_sel_hi:[1,0,0]
	v_pk_mul_f32 v[62:63], v[44:45], v[64:65] op_sel_hi:[1,0]
	v_pk_fma_f32 v[64:65], v[40:41], v[8:9], v[66:67] op_sel:[0,0,1] op_sel_hi:[1,1,0] neg_lo:[0,0,1] neg_hi:[0,0,1]
	v_pk_fma_f32 v[66:67], v[40:41], v[8:9], v[66:67] op_sel:[0,0,1] op_sel_hi:[1,0,0]
	v_mov_b32_e32 v69, v51
	s_waitcnt vmcnt(3)
	v_pk_mul_f32 v[58:59], v[58:59], v[4:5] op_sel_hi:[0,1]
	v_pk_mul_f32 v[60:61], v[60:61], v[6:7] op_sel_hi:[0,1]
	s_waitcnt vmcnt(2)
	v_pk_mul_f32 v[54:55], v[54:55], v[0:1] op_sel_hi:[0,1]
	v_pk_mul_f32 v[56:57], v[56:57], v[2:3] op_sel_hi:[0,1]
	v_pk_fma_f32 v[70:71], v[44:45], v[14:15], v[62:63] op_sel:[0,0,1] op_sel_hi:[1,1,0] neg_lo:[0,0,1] neg_hi:[0,0,1]
	v_pk_fma_f32 v[50:51], v[44:45], v[14:15], v[62:63] op_sel:[0,0,1] op_sel_hi:[1,0,0]
	v_pk_fma_f32 v[40:41], v[22:23], v[4:5], v[58:59] op_sel:[0,0,1] op_sel_hi:[1,1,0] neg_lo:[0,0,1] neg_hi:[0,0,1]
	v_pk_fma_f32 v[58:59], v[22:23], v[4:5], v[58:59] op_sel:[0,0,1] op_sel_hi:[0,1,0]
	;; [unrolled: 2-line block ×5, first 2 shown]
	v_mov_b32_e32 v41, v59
	v_mov_b32_e32 v23, v17
	;; [unrolled: 1-line block ×5, first 2 shown]
	v_pk_add_f32 v[48:49], v[40:41], v[54:55]
	v_pk_add_f32 v[50:51], v[22:23], v[40:41] neg_lo:[0,1] neg_hi:[0,1]
	v_pk_add_f32 v[56:57], v[44:45], v[54:55] neg_lo:[0,1] neg_hi:[0,1]
	v_pk_add_f32 v[58:59], v[22:23], v[44:45]
	v_pk_add_f32 v[16:17], v[40:41], v[54:55] neg_lo:[0,1] neg_hi:[0,1]
	v_pk_add_f32 v[18:19], v[22:23], v[44:45] neg_lo:[0,1] neg_hi:[0,1]
	;; [unrolled: 1-line block ×4, first 2 shown]
	v_pk_fma_f32 v[48:49], v[48:49], 0.5, v[20:21] op_sel_hi:[1,0,1] neg_lo:[1,0,0] neg_hi:[1,0,0]
	v_pk_add_f32 v[56:57], v[50:51], v[56:57]
	v_pk_fma_f32 v[50:51], v[58:59], 0.5, v[20:21] op_sel_hi:[1,0,1] neg_lo:[1,0,0] neg_hi:[1,0,0]
	v_pk_add_f32 v[58:59], v[60:61], v[62:63]
	v_pk_fma_f32 v[60:61], v[18:19], s[16:17], v[48:49] op_sel:[1,0,0] op_sel_hi:[0,0,1]
	v_pk_fma_f32 v[48:49], v[18:19], s[16:17], v[48:49] op_sel:[1,0,0] op_sel_hi:[0,0,1] neg_lo:[1,0,0] neg_hi:[1,0,0]
	v_pk_fma_f32 v[62:63], v[16:17], s[16:17], v[50:51] op_sel:[1,0,0] op_sel_hi:[0,0,1] neg_lo:[1,0,0] neg_hi:[1,0,0]
	v_pk_fma_f32 v[50:51], v[16:17], s[16:17], v[50:51] op_sel:[1,0,0] op_sel_hi:[0,0,1]
	v_pk_fma_f32 v[72:73], v[16:17], s[18:19], v[48:49] op_sel:[1,0,0] op_sel_hi:[0,0,1]
	v_pk_fma_f32 v[16:17], v[16:17], s[18:19], v[60:61] op_sel:[1,0,0] op_sel_hi:[0,0,1] neg_lo:[1,0,0] neg_hi:[1,0,0]
	v_pk_fma_f32 v[48:49], v[18:19], s[18:19], v[50:51] op_sel:[1,0,0] op_sel_hi:[0,0,1]
	v_pk_fma_f32 v[18:19], v[18:19], s[18:19], v[62:63] op_sel:[1,0,0] op_sel_hi:[0,0,1] neg_lo:[1,0,0] neg_hi:[1,0,0]
	v_mov_b32_e32 v60, v16
	v_mov_b32_e32 v61, v73
	;; [unrolled: 1-line block ×6, first 2 shown]
	v_pk_fma_f32 v[18:19], v[58:59], s[0:1], v[50:51] op_sel_hi:[1,0,1]
	v_pk_fma_f32 v[50:51], v[56:57], s[0:1], v[72:73] op_sel_hi:[1,0,1]
	;; [unrolled: 1-line block ×3, first 2 shown]
	v_mov_b32_e32 v56, v11
	v_pk_mul_f32 v[56:57], v[28:29], v[56:57] op_sel_hi:[1,0]
	v_pk_fma_f32 v[48:49], v[58:59], s[0:1], v[48:49] op_sel_hi:[1,0,1]
	v_pk_fma_f32 v[58:59], v[28:29], v[10:11], v[56:57] op_sel:[0,0,1] op_sel_hi:[1,1,0] neg_lo:[0,0,1] neg_hi:[0,0,1]
	v_pk_fma_f32 v[28:29], v[28:29], v[10:11], v[56:57] op_sel:[0,0,1] op_sel_hi:[1,0,0]
	v_mov_b32_e32 v65, v67
	v_mov_b32_e32 v59, v29
	v_pk_add_f32 v[56:57], v[70:71], v[64:65]
	v_pk_add_f32 v[60:61], v[68:69], v[58:59] neg_lo:[0,1] neg_hi:[0,1]
	v_pk_fma_f32 v[56:57], v[56:57], 0.5, v[24:25] op_sel_hi:[1,0,1] neg_lo:[1,0,0] neg_hi:[1,0,0]
	v_pk_mul_f32 v[62:63], v[60:61], s[16:17] op_sel_hi:[1,0]
	v_pk_add_f32 v[66:67], v[70:71], v[64:65] neg_lo:[0,1] neg_hi:[0,1]
	v_pk_add_f32 v[80:81], v[68:69], v[70:71] neg_lo:[0,1] neg_hi:[0,1]
	;; [unrolled: 1-line block ×3, first 2 shown]
	v_pk_add_f32 v[28:29], v[24:25], v[68:69]
	v_pk_mul_f32 v[72:73], v[66:67], s[18:19] op_sel_hi:[1,0]
	v_pk_add_f32 v[80:81], v[80:81], v[82:83]
	v_pk_add_f32 v[82:83], v[56:57], v[62:63] op_sel:[0,1] op_sel_hi:[1,0]
	v_pk_add_f32 v[56:57], v[56:57], v[62:63] op_sel:[0,1] op_sel_hi:[1,0] neg_lo:[0,1] neg_hi:[0,1]
	v_pk_add_f32 v[28:29], v[28:29], v[70:71]
	v_pk_add_f32 v[56:57], v[56:57], v[72:73] op_sel:[0,1] op_sel_hi:[1,0] neg_lo:[0,1] neg_hi:[0,1]
	v_pk_add_f32 v[62:63], v[82:83], v[72:73] op_sel:[0,1] op_sel_hi:[1,0]
	v_pk_add_f32 v[28:29], v[28:29], v[64:65]
	v_mov_b32_e32 v72, v62
	v_mov_b32_e32 v73, v57
	v_pk_add_f32 v[28:29], v[28:29], v[58:59]
	v_pk_fma_f32 v[72:73], v[80:81], s[0:1], v[72:73] op_sel_hi:[1,0,1]
	ds_write2_b64 v184, v[28:29], v[72:73] offset1:13
	v_pk_add_f32 v[28:29], v[68:69], v[58:59]
	v_pk_add_f32 v[58:59], v[64:65], v[58:59] neg_lo:[0,1] neg_hi:[0,1]
	v_pk_fma_f32 v[24:25], v[28:29], 0.5, v[24:25] op_sel_hi:[1,0,1] neg_lo:[1,0,0] neg_hi:[1,0,0]
	v_pk_add_f32 v[28:29], v[70:71], v[68:69] neg_lo:[0,1] neg_hi:[0,1]
	v_pk_mul_f32 v[60:61], v[60:61], s[18:19] op_sel_hi:[1,0]
	v_pk_add_f32 v[28:29], v[28:29], v[58:59]
	v_pk_mul_f32 v[58:59], v[66:67], s[16:17] op_sel_hi:[1,0]
	v_mov_b32_e32 v57, v63
	v_pk_add_f32 v[64:65], v[24:25], v[58:59] op_sel:[0,1] op_sel_hi:[1,0] neg_lo:[0,1] neg_hi:[0,1]
	v_pk_add_f32 v[24:25], v[24:25], v[58:59] op_sel:[0,1] op_sel_hi:[1,0]
	v_pk_add_f32 v[58:59], v[64:65], v[60:61] op_sel:[0,1] op_sel_hi:[1,0]
	v_pk_add_f32 v[24:25], v[24:25], v[60:61] op_sel:[0,1] op_sel_hi:[1,0] neg_lo:[0,1] neg_hi:[0,1]
	v_mov_b32_e32 v60, v58
	v_mov_b32_e32 v61, v25
	;; [unrolled: 1-line block ×3, first 2 shown]
	v_pk_fma_f32 v[60:61], v[28:29], s[0:1], v[60:61] op_sel_hi:[1,0,1]
	v_pk_fma_f32 v[24:25], v[28:29], s[0:1], v[24:25] op_sel_hi:[1,0,1]
	ds_write2_b64 v184, v[60:61], v[24:25] offset0:26 offset1:39
	v_pk_fma_f32 v[24:25], v[80:81], s[0:1], v[56:57] op_sel_hi:[1,0,1]
	ds_write_b64 v184, v[24:25] offset:416
	v_mul_u32_u24_e32 v24, 0x41, v75
	v_add_u32_sdwa v24, v24, v84 dst_sel:DWORD dst_unused:UNUSED_PAD src0_sel:DWORD src1_sel:BYTE_0
	v_add_lshl_u32 v185, v134, v24, 3
	s_waitcnt vmcnt(0)
	v_pk_mul_f32 v[24:25], v[52:53], v[36:37] op_sel:[0,1]
	s_nop 0
	v_pk_fma_f32 v[28:29], v[52:53], v[36:37], v[24:25] op_sel:[0,0,1] op_sel_hi:[1,1,0] neg_lo:[0,0,1] neg_hi:[0,0,1]
	v_pk_fma_f32 v[24:25], v[52:53], v[36:37], v[24:25] op_sel:[0,0,1] op_sel_hi:[1,0,0]
	s_nop 0
	v_mov_b32_e32 v24, v39
	v_mov_b32_e32 v29, v25
	v_pk_mul_f32 v[24:25], v[46:47], v[24:25] op_sel_hi:[1,0]
	s_nop 0
	v_pk_fma_f32 v[52:53], v[46:47], v[38:39], v[24:25] op_sel:[0,0,1] op_sel_hi:[1,1,0] neg_lo:[0,0,1] neg_hi:[0,0,1]
	v_pk_fma_f32 v[24:25], v[46:47], v[38:39], v[24:25] op_sel:[0,0,1] op_sel_hi:[1,0,0]
	s_nop 0
	v_mov_b32_e32 v53, v25
	v_pk_mul_f32 v[24:25], v[42:43], v[32:33] op_sel:[0,1]
	v_pk_add_f32 v[64:65], v[28:29], v[52:53] neg_lo:[0,1] neg_hi:[0,1]
	v_pk_fma_f32 v[46:47], v[42:43], v[32:33], v[24:25] op_sel:[0,0,1] op_sel_hi:[1,1,0] neg_lo:[0,0,1] neg_hi:[0,0,1]
	v_pk_fma_f32 v[24:25], v[42:43], v[32:33], v[24:25] op_sel:[0,0,1] op_sel_hi:[1,0,0]
	s_nop 0
	v_mov_b32_e32 v24, v35
	v_mov_b32_e32 v47, v25
	v_pk_mul_f32 v[24:25], v[30:31], v[24:25] op_sel_hi:[1,0]
	v_pk_add_f32 v[60:61], v[52:53], v[46:47] neg_lo:[0,1] neg_hi:[0,1]
	v_pk_fma_f32 v[42:43], v[30:31], v[34:35], v[24:25] op_sel:[0,0,1] op_sel_hi:[1,1,0] neg_lo:[0,0,1] neg_hi:[0,0,1]
	v_pk_fma_f32 v[24:25], v[30:31], v[34:35], v[24:25] op_sel:[0,0,1] op_sel_hi:[1,0,0]
	v_pk_add_f32 v[30:31], v[52:53], v[46:47]
	v_mov_b32_e32 v43, v25
	v_pk_add_f32 v[56:57], v[28:29], v[42:43] neg_lo:[0,1] neg_hi:[0,1]
	v_pk_fma_f32 v[30:31], v[30:31], 0.5, v[26:27] op_sel_hi:[1,0,1] neg_lo:[1,0,0] neg_hi:[1,0,0]
	v_pk_mul_f32 v[58:59], v[56:57], s[16:17] op_sel_hi:[1,0]
	v_pk_add_f32 v[66:67], v[42:43], v[46:47] neg_lo:[0,1] neg_hi:[0,1]
	v_pk_add_f32 v[24:25], v[26:27], v[28:29]
	v_pk_mul_f32 v[62:63], v[60:61], s[18:19] op_sel_hi:[1,0]
	v_pk_add_f32 v[64:65], v[64:65], v[66:67]
	v_pk_add_f32 v[66:67], v[30:31], v[58:59] op_sel:[0,1] op_sel_hi:[1,0]
	v_pk_add_f32 v[30:31], v[30:31], v[58:59] op_sel:[0,1] op_sel_hi:[1,0] neg_lo:[0,1] neg_hi:[0,1]
	v_pk_add_f32 v[24:25], v[24:25], v[52:53]
	v_pk_add_f32 v[30:31], v[30:31], v[62:63] op_sel:[0,1] op_sel_hi:[1,0] neg_lo:[0,1] neg_hi:[0,1]
	v_pk_add_f32 v[58:59], v[66:67], v[62:63] op_sel:[0,1] op_sel_hi:[1,0]
	v_pk_add_f32 v[24:25], v[24:25], v[46:47]
	v_mov_b32_e32 v62, v58
	v_mov_b32_e32 v63, v31
	v_pk_add_f32 v[24:25], v[24:25], v[42:43]
	v_pk_fma_f32 v[62:63], v[64:65], s[0:1], v[62:63] op_sel_hi:[1,0,1]
	ds_write2_b64 v185, v[24:25], v[62:63] offset1:13
	v_pk_add_f32 v[24:25], v[28:29], v[42:43]
	v_mov_b32_e32 v31, v59
	v_pk_fma_f32 v[24:25], v[24:25], 0.5, v[26:27] op_sel_hi:[1,0,1] neg_lo:[1,0,0] neg_hi:[1,0,0]
	v_pk_add_f32 v[26:27], v[52:53], v[28:29] neg_lo:[0,1] neg_hi:[0,1]
	v_pk_add_f32 v[28:29], v[46:47], v[42:43] neg_lo:[0,1] neg_hi:[0,1]
	v_pk_mul_f32 v[42:43], v[56:57], s[18:19] op_sel_hi:[1,0]
	v_pk_add_f32 v[26:27], v[26:27], v[28:29]
	v_pk_mul_f32 v[28:29], v[60:61], s[16:17] op_sel_hi:[1,0]
	s_nop 0
	v_pk_add_f32 v[46:47], v[24:25], v[28:29] op_sel:[0,1] op_sel_hi:[1,0] neg_lo:[0,1] neg_hi:[0,1]
	v_pk_add_f32 v[24:25], v[24:25], v[28:29] op_sel:[0,1] op_sel_hi:[1,0]
	v_pk_add_f32 v[28:29], v[46:47], v[42:43] op_sel:[0,1] op_sel_hi:[1,0]
	v_pk_add_f32 v[24:25], v[24:25], v[42:43] op_sel:[0,1] op_sel_hi:[1,0] neg_lo:[0,1] neg_hi:[0,1]
	v_mov_b32_e32 v42, v28
	v_mov_b32_e32 v43, v25
	;; [unrolled: 1-line block ×3, first 2 shown]
	v_pk_fma_f32 v[42:43], v[26:27], s[0:1], v[42:43] op_sel_hi:[1,0,1]
	v_pk_fma_f32 v[24:25], v[26:27], s[0:1], v[24:25] op_sel_hi:[1,0,1]
	ds_write2_b64 v185, v[42:43], v[24:25] offset0:26 offset1:39
	v_pk_fma_f32 v[24:25], v[64:65], s[0:1], v[30:31] op_sel_hi:[1,0,1]
	ds_write_b64 v185, v[24:25] offset:416
	s_and_saveexec_b64 s[0:1], s[2:3]
	s_cbranch_execz .LBB0_11
; %bb.10:
	v_pk_add_f32 v[20:21], v[20:21], v[40:41]
	v_and_b32_e32 v24, 0xff, v182
	v_pk_add_f32 v[20:21], v[20:21], v[22:23]
	v_add_lshl_u32 v24, v134, v24, 3
	v_pk_add_f32 v[20:21], v[20:21], v[44:45]
	v_add_u32_e32 v22, 0x1000, v24
	v_pk_add_f32 v[20:21], v[20:21], v[54:55]
	ds_write2_b64 v22, v[20:21], v[48:49] offset0:138 offset1:151
	ds_write2_b64 v22, v[50:51], v[16:17] offset0:164 offset1:177
	ds_write_b64 v24, v[18:19] offset:5616
.LBB0_11:
	s_or_b64 exec, exec, s[0:1]
	s_movk_i32 s0, 0x50
	v_mov_b64_e32 v[20:21], s[6:7]
	v_mad_u64_u32 v[52:53], s[0:1], v78, s0, v[20:21]
	s_waitcnt lgkmcnt(0)
	s_barrier
	global_load_dwordx4 v[20:23], v[52:53], off offset:464
	global_load_dwordx4 v[28:31], v[52:53], off offset:480
	global_load_dwordx4 v[44:47], v[52:53], off offset:432
	global_load_dwordx4 v[40:43], v[52:53], off offset:448
	global_load_dwordx4 v[24:27], v[52:53], off offset:416
	v_add_u32_e32 v68, 0x800, v79
	v_add_u32_e32 v60, 0x1000, v79
	ds_read_b64 v[72:73], v79 offset:5200
	ds_read2_b64 v[52:55], v79 offset1:65
	ds_read2_b64 v[56:59], v79 offset0:130 offset1:195
	ds_read2_b64 v[60:63], v60 offset0:8 offset1:73
	;; [unrolled: 1-line block ×4, first 2 shown]
	s_mov_b32 s26, 0xbf0a6770
	s_mov_b32 s6, 0x3f575c64
	;; [unrolled: 1-line block ×15, first 2 shown]
	v_lshl_add_u32 v186, v78, 3, v77
	s_waitcnt vmcnt(4) lgkmcnt(2)
	v_pk_mul_f32 v[82:83], v[60:61], v[22:23] op_sel:[1,0] op_sel_hi:[0,1]
	s_waitcnt vmcnt(3)
	v_pk_mul_f32 v[84:85], v[62:63], v[28:29] op_sel:[0,1]
	v_mov_b32_e32 v86, v31
	s_waitcnt vmcnt(2)
	v_mov_b32_e32 v88, v47
	s_waitcnt vmcnt(1) lgkmcnt(1)
	v_pk_mul_f32 v[90:91], v[66:67], v[40:41] op_sel:[0,1]
	v_mov_b32_e32 v92, v43
	s_waitcnt lgkmcnt(0)
	v_pk_mul_f32 v[94:95], v[70:71], v[20:21] op_sel:[0,1]
	s_waitcnt vmcnt(0)
	v_pk_mul_f32 v[96:97], v[54:55], v[24:25] op_sel:[0,1]
	v_mov_b32_e32 v98, v27
	v_mov_b32_e32 v75, v82
	v_pk_fma_f32 v[82:83], v[62:63], v[28:29], v[84:85] op_sel:[0,0,1] op_sel_hi:[1,1,0] neg_lo:[0,0,1] neg_hi:[0,0,1]
	v_pk_fma_f32 v[62:63], v[62:63], v[28:29], v[84:85] op_sel:[0,0,1] op_sel_hi:[1,0,0]
	v_pk_mul_f32 v[84:85], v[72:73], v[86:87] op_sel_hi:[1,0]
	v_pk_mul_f32 v[86:87], v[64:65], v[88:89] op_sel_hi:[1,0]
	v_pk_fma_f32 v[88:89], v[66:67], v[40:41], v[90:91] op_sel:[0,0,1] op_sel_hi:[1,1,0] neg_lo:[0,0,1] neg_hi:[0,0,1]
	v_pk_fma_f32 v[66:67], v[66:67], v[40:41], v[90:91] op_sel:[0,0,1] op_sel_hi:[1,0,0]
	v_pk_mul_f32 v[90:91], v[68:69], v[92:93] op_sel_hi:[1,0]
	v_pk_fma_f32 v[92:93], v[70:71], v[20:21], v[94:95] op_sel:[0,0,1] op_sel_hi:[1,1,0] neg_lo:[0,0,1] neg_hi:[0,0,1]
	v_pk_fma_f32 v[70:71], v[70:71], v[20:21], v[94:95] op_sel:[0,0,1] op_sel_hi:[1,0,0]
	v_pk_fma_f32 v[94:95], v[54:55], v[24:25], v[96:97] op_sel:[0,0,1] op_sel_hi:[1,1,0] neg_lo:[0,0,1] neg_hi:[0,0,1]
	v_pk_fma_f32 v[54:55], v[54:55], v[24:25], v[96:97] op_sel:[0,0,1] op_sel_hi:[1,0,0]
	v_pk_mul_f32 v[96:97], v[56:57], v[98:99] op_sel_hi:[1,0]
	v_pk_mul_f32 v[100:101], v[58:59], v[44:45] op_sel:[0,1]
	v_mov_b32_e32 v95, v55
	v_pk_fma_f32 v[54:55], v[56:57], v[26:27], v[96:97] op_sel:[0,0,1] op_sel_hi:[1,1,0] neg_lo:[0,0,1] neg_hi:[0,0,1]
	v_pk_fma_f32 v[56:57], v[56:57], v[26:27], v[96:97] op_sel:[0,0,1] op_sel_hi:[1,0,0]
	v_pk_fma_f32 v[98:99], v[58:59], v[44:45], v[100:101] op_sel:[0,0,1] op_sel_hi:[1,1,0] neg_lo:[0,0,1] neg_hi:[0,0,1]
	v_pk_fma_f32 v[58:59], v[58:59], v[44:45], v[100:101] op_sel:[0,0,1] op_sel_hi:[1,0,0]
	v_mov_b32_e32 v55, v57
	v_pk_add_f32 v[56:57], v[52:53], v[94:95]
	v_mov_b32_e32 v83, v63
	v_pk_fma_f32 v[62:63], v[72:73], v[30:31], v[84:85] op_sel:[0,0,1] op_sel_hi:[1,1,0] neg_lo:[0,0,1] neg_hi:[0,0,1]
	v_pk_fma_f32 v[72:73], v[72:73], v[30:31], v[84:85] op_sel:[0,0,1] op_sel_hi:[1,0,0]
	v_pk_fma_f32 v[84:85], v[64:65], v[46:47], v[86:87] op_sel:[0,0,1] op_sel_hi:[1,1,0] neg_lo:[0,0,1] neg_hi:[0,0,1]
	v_pk_fma_f32 v[64:65], v[64:65], v[46:47], v[86:87] op_sel:[0,0,1] op_sel_hi:[1,0,0]
	v_mov_b32_e32 v89, v67
	v_pk_fma_f32 v[66:67], v[68:69], v[42:43], v[90:91] op_sel:[0,0,1] op_sel_hi:[1,1,0] neg_lo:[0,0,1] neg_hi:[0,0,1]
	v_pk_fma_f32 v[68:69], v[68:69], v[42:43], v[90:91] op_sel:[0,0,1] op_sel_hi:[1,0,0]
	v_mov_b32_e32 v99, v59
	v_pk_add_f32 v[56:57], v[56:57], v[54:55]
	v_mov_b32_e32 v93, v71
	v_mov_b32_e32 v85, v65
	;; [unrolled: 1-line block ×3, first 2 shown]
	v_pk_add_f32 v[68:69], v[54:55], v[82:83]
	v_pk_add_f32 v[70:71], v[54:55], v[82:83] neg_lo:[0,1] neg_hi:[0,1]
	v_pk_add_f32 v[54:55], v[56:57], v[98:99]
	v_mov_b32_e32 v80, v23
	v_pk_add_f32 v[54:55], v[54:55], v[84:85]
	v_pk_mul_f32 v[80:81], v[60:61], v[80:81] op_sel:[1,0] op_sel_hi:[0,1]
	v_mov_b32_e32 v63, v73
	v_pk_add_f32 v[54:55], v[54:55], v[88:89]
	v_pk_fma_f32 v[100:101], v[60:61], v[22:23], v[80:81] neg_lo:[0,0,1] neg_hi:[0,0,1]
	v_pk_fma_f32 v[60:61], v[60:61], v[22:23], v[74:75] op_sel:[1,0,0] op_sel_hi:[0,1,1]
	v_pk_add_f32 v[58:59], v[94:95], v[62:63] neg_lo:[0,1] neg_hi:[0,1]
	v_pk_add_f32 v[54:55], v[54:55], v[66:67]
	v_mov_b32_e32 v101, v61
	v_pk_add_f32 v[64:65], v[94:95], v[62:63]
	v_pk_mul_f32 v[56:57], v[58:59], s[26:27] op_sel:[1,0] op_sel_hi:[0,0]
	v_pk_add_f32 v[54:55], v[54:55], v[92:93]
	v_pk_mul_f32 v[60:61], v[70:71], s[16:17] op_sel_hi:[1,0]
	v_pk_fma_f32 v[86:87], v[64:65], s[6:7], v[56:57] op_sel_hi:[1,0,1]
	v_pk_fma_f32 v[56:57], v[64:65], s[6:7], v[56:57] op_sel_hi:[1,0,1] neg_lo:[0,0,1] neg_hi:[0,0,1]
	v_pk_add_f32 v[54:55], v[54:55], v[100:101]
	v_pk_add_f32 v[96:97], v[98:99], v[100:101]
	v_pk_add_f32 v[98:99], v[98:99], v[100:101] neg_lo:[0,1] neg_hi:[0,1]
	v_pk_fma_f32 v[90:91], v[68:69], s[0:1], v[60:61] op_sel:[0,0,1] op_sel_hi:[1,0,0]
	v_pk_fma_f32 v[60:61], v[68:69], s[0:1], v[60:61] op_sel:[0,0,1] op_sel_hi:[1,0,0] neg_lo:[0,0,1] neg_hi:[0,0,1]
	v_mov_b32_e32 v80, v86
	v_mov_b32_e32 v81, v57
	v_pk_add_f32 v[54:55], v[54:55], v[82:83]
	v_pk_mul_f32 v[100:101], v[98:99], s[18:19] op_sel:[1,0] op_sel_hi:[0,0]
	v_pk_add_f32 v[94:95], v[52:53], v[80:81]
	v_pk_add_f32 v[80:81], v[54:55], v[62:63]
	v_mov_b32_e32 v54, v90
	v_mov_b32_e32 v55, v61
	v_pk_fma_f32 v[102:103], v[96:97], s[20:21], v[100:101] op_sel_hi:[1,0,1]
	v_pk_fma_f32 v[100:101], v[96:97], s[20:21], v[100:101] op_sel_hi:[1,0,1] neg_lo:[0,0,1] neg_hi:[0,0,1]
	v_pk_add_f32 v[54:55], v[54:55], v[94:95]
	v_mov_b32_e32 v104, v102
	v_mov_b32_e32 v105, v101
	v_pk_add_f32 v[54:55], v[104:105], v[54:55]
	v_pk_mul_f32 v[104:105], v[98:99], s[34:35] op_sel:[1,0] op_sel_hi:[0,0]
	v_pk_fma_f32 v[106:107], v[96:97], s[30:31], v[104:105] op_sel_hi:[1,0,1]
	v_pk_fma_f32 v[104:105], v[96:97], s[30:31], v[104:105] op_sel_hi:[1,0,1] neg_lo:[0,0,1] neg_hi:[0,0,1]
	v_mov_b32_e32 v117, v65
	v_mov_b32_e32 v65, v58
	s_mov_b32 s31, s38
	v_mov_b32_e32 v72, v59
	v_mov_b32_e32 v116, v59
	v_pk_mul_f32 v[58:59], v[64:65], s[30:31]
	v_pk_mul_f32 v[122:123], v[70:71], s[36:37] op_sel_hi:[1,0]
	v_pk_fma_f32 v[118:119], v[72:73], s[38:39], v[58:59] neg_lo:[1,0,0] neg_hi:[1,0,0]
	v_pk_fma_f32 v[120:121], v[116:117], s[38:39], v[58:59]
	v_pk_fma_f32 v[58:59], v[116:117], s[38:39], v[58:59] neg_lo:[0,0,1] neg_hi:[0,0,1]
	v_mov_b32_e32 v119, v121
	v_pk_fma_f32 v[124:125], v[68:69], s[6:7], v[122:123] op_sel:[0,0,1] op_sel_hi:[1,0,0] neg_lo:[0,0,1] neg_hi:[0,0,1]
	v_pk_fma_f32 v[122:123], v[68:69], s[6:7], v[122:123] op_sel:[0,0,1] op_sel_hi:[1,0,0]
	v_mov_b32_e32 v121, v59
	v_mov_b32_e32 v127, v123
	v_pk_add_f32 v[58:59], v[52:53], v[120:121]
	v_mov_b32_e32 v123, v125
	v_pk_mul_f32 v[120:121], v[98:99], s[28:29] op_sel:[1,0] op_sel_hi:[0,0]
	v_pk_add_f32 v[58:59], v[122:123], v[58:59]
	v_pk_fma_f32 v[122:123], v[96:97], s[22:23], v[120:121] op_sel_hi:[1,0,1] neg_lo:[0,0,1] neg_hi:[0,0,1]
	v_pk_fma_f32 v[120:121], v[96:97], s[22:23], v[120:121] op_sel_hi:[1,0,1]
	v_pk_mul_f32 v[62:63], v[70:71], s[28:29] op_sel_hi:[1,0]
	v_mov_b32_e32 v125, v121
	v_mov_b32_e32 v121, v123
	v_pk_add_f32 v[58:59], v[120:121], v[58:59]
	v_pk_add_f32 v[120:121], v[84:85], v[92:93]
	v_pk_add_f32 v[84:85], v[84:85], v[92:93] neg_lo:[0,1] neg_hi:[0,1]
	v_pk_fma_f32 v[82:83], v[68:69], s[22:23], v[62:63] op_sel:[0,0,1] op_sel_hi:[1,0,0]
	v_pk_mul_f32 v[92:93], v[84:85], s[28:29] op_sel:[1,0] op_sel_hi:[0,0]
	v_pk_fma_f32 v[62:63], v[68:69], s[22:23], v[62:63] op_sel:[0,0,1] op_sel_hi:[1,0,0] neg_lo:[0,0,1] neg_hi:[0,0,1]
	v_mov_b32_e32 v126, v124
	v_mov_b32_e32 v124, v122
	v_pk_fma_f32 v[122:123], v[120:121], s[22:23], v[92:93] op_sel_hi:[1,0,1]
	v_pk_fma_f32 v[92:93], v[120:121], s[22:23], v[92:93] op_sel_hi:[1,0,1] neg_lo:[0,0,1] neg_hi:[0,0,1]
	s_mov_b32 s23, s28
	s_mov_b32 s29, s22
	v_pk_mul_f32 v[138:139], v[64:65], s[22:23]
	v_pk_add_f32 v[118:119], v[52:53], v[118:119]
	v_pk_fma_f32 v[140:141], v[72:73], s[28:29], v[138:139] neg_lo:[1,0,0] neg_hi:[1,0,0]
	v_pk_fma_f32 v[142:143], v[116:117], s[28:29], v[138:139]
	v_pk_fma_f32 v[138:139], v[116:117], s[28:29], v[138:139] neg_lo:[0,0,1] neg_hi:[0,0,1]
	v_mov_b32_e32 v141, v143
	v_mov_b32_e32 v143, v139
	v_pk_add_f32 v[118:119], v[126:127], v[118:119]
	v_pk_add_f32 v[138:139], v[52:53], v[142:143]
	v_pk_mul_f32 v[142:143], v[70:71], s[40:41] op_sel_hi:[1,0]
	v_pk_add_f32 v[118:119], v[124:125], v[118:119]
	v_mov_b32_e32 v124, v122
	v_mov_b32_e32 v125, v93
	v_pk_fma_f32 v[144:145], v[68:69], s[20:21], v[142:143] op_sel:[0,0,1] op_sel_hi:[1,0,0] neg_lo:[0,0,1] neg_hi:[0,0,1]
	v_pk_fma_f32 v[142:143], v[68:69], s[20:21], v[142:143] op_sel:[0,0,1] op_sel_hi:[1,0,0]
	v_pk_mul_f32 v[110:111], v[98:99], s[24:25] op_sel:[1,0] op_sel_hi:[0,0]
	v_pk_add_f32 v[124:125], v[124:125], v[54:55]
	v_pk_mul_f32 v[54:55], v[84:85], s[40:41] op_sel:[1,0] op_sel_hi:[0,0]
	v_mov_b32_e32 v147, v143
	v_mov_b32_e32 v143, v145
	v_pk_mul_f32 v[98:99], v[98:99], s[26:27] op_sel:[1,0] op_sel_hi:[0,0]
	v_pk_fma_f32 v[112:113], v[96:97], s[0:1], v[110:111] op_sel_hi:[1,0,1]
	v_pk_fma_f32 v[110:111], v[96:97], s[0:1], v[110:111] op_sel_hi:[1,0,1] neg_lo:[0,0,1] neg_hi:[0,0,1]
	v_pk_fma_f32 v[126:127], v[120:121], s[20:21], v[54:55] op_sel_hi:[1,0,1]
	v_pk_fma_f32 v[128:129], v[120:121], s[20:21], v[54:55] op_sel_hi:[1,0,1] neg_lo:[0,0,1] neg_hi:[0,0,1]
	v_pk_mul_f32 v[54:55], v[84:85], s[26:27] op_sel:[1,0] op_sel_hi:[0,0]
	v_pk_add_f32 v[138:139], v[142:143], v[138:139]
	v_pk_fma_f32 v[142:143], v[96:97], s[6:7], v[98:99] op_sel_hi:[1,0,1] neg_lo:[0,0,1] neg_hi:[0,0,1]
	v_pk_fma_f32 v[96:97], v[96:97], s[6:7], v[98:99] op_sel_hi:[1,0,1]
	v_pk_fma_f32 v[132:133], v[120:121], s[6:7], v[54:55] op_sel_hi:[1,0,1]
	v_pk_fma_f32 v[134:135], v[120:121], s[6:7], v[54:55] op_sel_hi:[1,0,1] neg_lo:[0,0,1] neg_hi:[0,0,1]
	v_pk_mul_f32 v[54:55], v[84:85], s[38:39] op_sel:[1,0] op_sel_hi:[0,0]
	v_pk_add_f32 v[140:141], v[52:53], v[140:141]
	v_mov_b32_e32 v146, v144
	v_mov_b32_e32 v99, v97
	;; [unrolled: 1-line block ×3, first 2 shown]
	v_pk_add_f32 v[140:141], v[146:147], v[140:141]
	v_mov_b32_e32 v98, v142
	v_pk_add_f32 v[96:97], v[96:97], v[138:139]
	v_pk_fma_f32 v[138:139], v[120:121], s[30:31], v[54:55] op_sel_hi:[1,0,1] neg_lo:[0,0,1] neg_hi:[0,0,1]
	v_pk_fma_f32 v[54:55], v[120:121], s[30:31], v[54:55] op_sel_hi:[1,0,1]
	v_pk_add_f32 v[98:99], v[98:99], v[140:141]
	v_mov_b32_e32 v141, v55
	v_mov_b32_e32 v55, v139
	v_pk_add_f32 v[96:97], v[54:55], v[96:97]
	v_pk_mul_f32 v[54:55], v[120:121], s[0:1] op_sel_hi:[1,0]
	v_mov_b32_e32 v57, v87
	v_pk_fma_f32 v[120:121], v[84:85], s[24:25], v[54:55] op_sel:[1,0,0] op_sel_hi:[0,0,1] neg_lo:[1,0,0] neg_hi:[1,0,0]
	v_pk_fma_f32 v[54:55], v[84:85], s[24:25], v[54:55] op_sel:[1,0,0] op_sel_hi:[0,0,1]
	v_mov_b32_e32 v84, v120
	v_mov_b32_e32 v85, v55
	;; [unrolled: 1-line block ×3, first 2 shown]
	v_pk_add_f32 v[120:121], v[88:89], v[66:67]
	v_pk_add_f32 v[88:89], v[88:89], v[66:67] neg_lo:[0,1] neg_hi:[0,1]
	v_pk_add_f32 v[84:85], v[84:85], v[118:119]
	v_pk_add_f32 v[118:119], v[54:55], v[58:59]
	v_pk_mul_f32 v[54:55], v[88:89], s[38:39] op_sel:[1,0] op_sel_hi:[0,0]
	v_pk_add_f32 v[56:57], v[52:53], v[56:57]
	v_mov_b32_e32 v61, v91
	v_pk_add_f32 v[56:57], v[60:61], v[56:57]
	v_pk_fma_f32 v[58:59], v[120:121], s[30:31], v[54:55] op_sel_hi:[1,0,1] neg_lo:[0,0,1] neg_hi:[0,0,1]
	v_pk_fma_f32 v[60:61], v[120:121], s[30:31], v[54:55] op_sel_hi:[1,0,1]
	s_mov_b32 s1, s16
	v_mov_b32_e32 v101, v103
	v_mov_b32_e32 v54, v58
	v_mov_b32_e32 v55, v61
	v_mov_b32_e32 v61, v59
	s_mov_b32 s17, s0
	v_pk_mul_f32 v[58:59], v[64:65], s[0:1]
	v_pk_add_f32 v[56:57], v[100:101], v[56:57]
	v_mov_b32_e32 v93, v123
	v_pk_fma_f32 v[66:67], v[72:73], s[16:17], v[58:59] neg_lo:[1,0,0] neg_hi:[1,0,0]
	v_pk_fma_f32 v[86:87], v[116:117], s[16:17], v[58:59]
	v_pk_add_f32 v[56:57], v[92:93], v[56:57]
	v_mov_b32_e32 v67, v87
	v_mov_b32_e32 v95, v63
	v_pk_add_f32 v[54:55], v[54:55], v[56:57]
	v_pk_mul_f32 v[56:57], v[88:89], s[36:37] op_sel:[1,0] op_sel_hi:[0,0]
	v_pk_add_f32 v[66:67], v[52:53], v[66:67]
	v_mov_b32_e32 v63, v83
	s_mov_b32 s21, s18
	v_mov_b32_e32 v94, v82
	v_pk_add_f32 v[62:63], v[62:63], v[66:67]
	v_pk_fma_f32 v[66:67], v[120:121], s[6:7], v[56:57] op_sel_hi:[1,0,1] neg_lo:[0,0,1] neg_hi:[0,0,1]
	v_pk_fma_f32 v[82:83], v[120:121], s[6:7], v[56:57] op_sel_hi:[1,0,1]
	s_mov_b32 s19, s20
	v_pk_mul_f32 v[64:65], v[64:65], s[20:21]
	v_mov_b32_e32 v56, v66
	v_mov_b32_e32 v57, v83
	;; [unrolled: 1-line block ×3, first 2 shown]
	v_pk_fma_f32 v[66:67], v[72:73], s[18:19], v[64:65] neg_lo:[1,0,0] neg_hi:[1,0,0]
	v_pk_fma_f32 v[72:73], v[116:117], s[18:19], v[64:65]
	v_pk_fma_f32 v[64:65], v[116:117], s[18:19], v[64:65] neg_lo:[0,0,1] neg_hi:[0,0,1]
	v_mov_b32_e32 v109, v105
	v_pk_fma_f32 v[58:59], v[116:117], s[16:17], v[58:59] neg_lo:[0,0,1] neg_hi:[0,0,1]
	v_mov_b32_e32 v105, v107
	v_mov_b32_e32 v67, v73
	;; [unrolled: 1-line block ×3, first 2 shown]
	v_pk_mul_f32 v[64:65], v[70:71], s[34:35] op_sel_hi:[1,0]
	v_mov_b32_e32 v131, v129
	v_mov_b32_e32 v87, v59
	v_pk_add_f32 v[62:63], v[104:105], v[62:63]
	v_mov_b32_e32 v129, v127
	v_pk_fma_f32 v[70:71], v[68:69], s[30:31], v[64:65] op_sel:[0,0,1] op_sel_hi:[1,0,0] neg_lo:[0,0,1] neg_hi:[0,0,1]
	v_pk_fma_f32 v[64:65], v[68:69], s[30:31], v[64:65] op_sel:[0,0,1] op_sel_hi:[1,0,0]
	v_pk_add_f32 v[58:59], v[52:53], v[86:87]
	v_pk_add_f32 v[62:63], v[128:129], v[62:63]
	;; [unrolled: 1-line block ×4, first 2 shown]
	v_mov_b32_e32 v68, v70
	v_mov_b32_e32 v69, v65
	;; [unrolled: 1-line block ×5, first 2 shown]
	v_pk_add_f32 v[56:57], v[56:57], v[62:63]
	v_pk_mul_f32 v[62:63], v[88:89], s[28:29] op_sel:[1,0] op_sel_hi:[0,0]
	v_pk_add_f32 v[66:67], v[68:69], v[66:67]
	v_pk_add_f32 v[52:53], v[64:65], v[52:53]
	v_mov_b32_e32 v111, v113
	v_mov_b32_e32 v136, v132
	;; [unrolled: 1-line block ×3, first 2 shown]
	v_pk_add_f32 v[64:65], v[110:111], v[66:67]
	v_pk_add_f32 v[52:53], v[114:115], v[52:53]
	v_pk_fma_f32 v[66:67], v[120:121], s[22:23], v[62:63] op_sel_hi:[1,0,1] neg_lo:[0,0,1] neg_hi:[0,0,1]
	v_pk_fma_f32 v[68:69], v[120:121], s[22:23], v[62:63] op_sel_hi:[1,0,1]
	v_pk_add_f32 v[52:53], v[136:137], v[52:53]
	v_mov_b32_e32 v63, v69
	v_mov_b32_e32 v69, v67
	;; [unrolled: 1-line block ×3, first 2 shown]
	v_pk_add_f32 v[68:69], v[68:69], v[52:53]
	v_pk_mul_f32 v[52:53], v[120:121], s[0:1] op_sel_hi:[1,0]
	v_pk_add_f32 v[64:65], v[134:135], v[64:65]
	v_mov_b32_e32 v62, v66
	v_pk_fma_f32 v[66:67], v[88:89], s[24:25], v[52:53] op_sel:[1,0,0] op_sel_hi:[0,0,1] neg_lo:[1,0,0] neg_hi:[1,0,0]
	v_pk_fma_f32 v[52:53], v[88:89], s[24:25], v[52:53] op_sel:[1,0,0] op_sel_hi:[0,0,1]
	v_pk_add_f32 v[62:63], v[62:63], v[64:65]
	v_mov_b32_e32 v65, v53
	v_mov_b32_e32 v53, v67
	;; [unrolled: 1-line block ×3, first 2 shown]
	v_pk_add_f32 v[66:67], v[52:53], v[96:97]
	v_pk_mul_f32 v[52:53], v[120:121], s[20:21] op_sel_hi:[1,0]
	v_mov_b32_e32 v108, v106
	v_mov_b32_e32 v140, v138
	v_pk_add_f32 v[58:59], v[94:95], v[58:59]
	v_pk_fma_f32 v[72:73], v[88:89], s[18:19], v[52:53] op_sel:[1,0,0] op_sel_hi:[0,0,1] neg_lo:[1,0,0] neg_hi:[1,0,0]
	v_pk_fma_f32 v[52:53], v[88:89], s[18:19], v[52:53] op_sel:[1,0,0] op_sel_hi:[0,0,1]
	v_mov_b32_e32 v130, v126
	v_pk_add_f32 v[98:99], v[140:141], v[98:99]
	v_pk_add_f32 v[58:59], v[108:109], v[58:59]
	v_mov_b32_e32 v71, v53
	v_mov_b32_e32 v53, v73
	v_pk_add_f32 v[58:59], v[130:131], v[58:59]
	v_pk_add_f32 v[64:65], v[64:65], v[98:99]
	v_mov_b32_e32 v70, v72
	v_pk_add_f32 v[72:73], v[52:53], v[118:119]
	v_add_u32_e32 v52, 0x400, v186
	v_pk_add_f32 v[60:61], v[60:61], v[124:125]
	v_pk_add_f32 v[58:59], v[82:83], v[58:59]
	;; [unrolled: 1-line block ×3, first 2 shown]
	ds_write_b64 v186, v[80:81]
	ds_write2_b64 v186, v[54:55], v[56:57] offset0:65 offset1:130
	ds_write2_b64 v52, v[62:63], v[64:65] offset0:67 offset1:132
	v_add_u32_e32 v52, 0x800, v186
	v_add_u32_e32 v82, 0xc00, v186
	;; [unrolled: 1-line block ×3, first 2 shown]
	ds_write2_b64 v52, v[70:71], v[72:73] offset0:69 offset1:134
	ds_write2_b64 v82, v[66:67], v[68:69] offset0:71 offset1:136
	;; [unrolled: 1-line block ×3, first 2 shown]
	s_waitcnt lgkmcnt(0)
	s_barrier
	s_and_saveexec_b64 s[0:1], s[4:5]
	s_cbranch_execz .LBB0_13
; %bb.12:
	v_mov_b32_e32 v75, 0
	v_lshl_add_u64 v[84:85], s[12:13], 0, v[74:75]
	v_add_co_u32_e32 v86, vcc, 0x1000, v84
	s_mov_b64 s[6:7], 0x1658
	s_nop 0
	v_addc_co_u32_e32 v87, vcc, 0, v85, vcc
	global_load_dwordx2 v[86:87], v[86:87], off offset:1624
	v_lshl_add_u64 v[88:89], v[84:85], 0, s[6:7]
	s_movk_i32 s6, 0x2000
	global_load_dwordx2 v[108:109], v[88:89], off offset:440
	global_load_dwordx2 v[110:111], v[88:89], off offset:880
	v_add_co_u32_e32 v84, vcc, s6, v84
	global_load_dwordx2 v[112:113], v[88:89], off offset:1320
	global_load_dwordx2 v[114:115], v[88:89], off offset:1760
	;; [unrolled: 1-line block ×4, first 2 shown]
	v_addc_co_u32_e32 v85, vcc, 0, v85, vcc
	global_load_dwordx2 v[120:121], v[88:89], off offset:3080
	global_load_dwordx2 v[122:123], v[88:89], off offset:3520
	global_load_dwordx2 v[124:125], v[84:85], off offset:1928
	global_load_dwordx2 v[126:127], v[84:85], off offset:2368
	global_load_dwordx2 v[128:129], v[88:89], off offset:3960
	global_load_dwordx2 v[130:131], v[84:85], off offset:2808
	ds_read_b64 v[84:85], v186
	s_waitcnt vmcnt(12) lgkmcnt(0)
	v_mul_f32_e32 v75, v85, v87
	v_mul_f32_e32 v89, v84, v87
	v_fma_f32 v88, v84, v86, -v75
	v_fmac_f32_e32 v89, v85, v86
	ds_write_b64 v186, v[88:89]
	ds_read2_b64 v[84:87], v186 offset0:55 offset1:110
	ds_read2_b64 v[88:91], v186 offset0:165 offset1:220
	;; [unrolled: 1-line block ×6, first 2 shown]
	s_waitcnt vmcnt(11) lgkmcnt(5)
	v_mul_f32_e32 v75, v85, v109
	v_mul_f32_e32 v133, v84, v109
	s_waitcnt vmcnt(10)
	v_mul_f32_e32 v83, v87, v111
	v_mul_f32_e32 v109, v86, v111
	s_waitcnt vmcnt(9) lgkmcnt(4)
	v_mul_f32_e32 v134, v89, v113
	v_mul_f32_e32 v111, v88, v113
	s_waitcnt vmcnt(8)
	v_mul_f32_e32 v135, v91, v115
	v_mul_f32_e32 v113, v90, v115
	;; [unrolled: 6-line block ×4, first 2 shown]
	s_waitcnt vmcnt(1) lgkmcnt(1)
	v_mul_f32_e32 v140, v101, v129
	v_mul_f32_e32 v123, v100, v129
	;; [unrolled: 1-line block ×4, first 2 shown]
	s_waitcnt lgkmcnt(0)
	v_mul_f32_e32 v142, v105, v127
	v_mul_f32_e32 v125, v104, v127
	s_waitcnt vmcnt(0)
	v_mul_f32_e32 v143, v107, v131
	v_mul_f32_e32 v127, v106, v131
	v_fma_f32 v132, v84, v108, -v75
	v_fmac_f32_e32 v133, v85, v108
	v_fma_f32 v108, v86, v110, -v83
	v_fmac_f32_e32 v109, v87, v110
	;; [unrolled: 2-line block ×12, first 2 shown]
	ds_write2_b64 v186, v[132:133], v[108:109] offset0:55 offset1:110
	ds_write2_b64 v186, v[110:111], v[112:113] offset0:165 offset1:220
	;; [unrolled: 1-line block ×6, first 2 shown]
.LBB0_13:
	s_or_b64 exec, exec, s[0:1]
	s_waitcnt lgkmcnt(0)
	s_barrier
	s_and_saveexec_b64 s[0:1], s[4:5]
	s_cbranch_execz .LBB0_15
; %bb.14:
	v_add_u32_e32 v48, 0x800, v186
	ds_read_b64 v[80:81], v186
	ds_read2_b64 v[54:57], v186 offset0:55 offset1:110
	ds_read2_b64 v[62:65], v186 offset0:165 offset1:220
	;; [unrolled: 1-line block ×4, first 2 shown]
	v_add_u32_e32 v48, 0xc00, v186
	ds_read2_b64 v[58:61], v48 offset0:111 offset1:166
	v_add_u32_e32 v48, 0x1000, v186
	ds_read2_b64 v[48:51], v48 offset0:93 offset1:148
.LBB0_15:
	s_or_b64 exec, exec, s[0:1]
	s_waitcnt lgkmcnt(0)
	v_pk_add_f32 v[52:53], v[54:55], v[50:51] neg_lo:[0,1] neg_hi:[0,1]
	v_pk_add_f32 v[100:101], v[54:55], v[50:51]
	v_mov_b32_e32 v87, v52
	v_mov_b32_e32 v86, v100
	v_mov_b32_e32 v100, v53
	v_pk_add_f32 v[52:53], v[56:57], v[48:49] neg_lo:[0,1] neg_hi:[0,1]
	v_pk_add_f32 v[98:99], v[56:57], v[48:49]
	v_mov_b32_e32 v89, v52
	v_mov_b32_e32 v88, v98
	v_mov_b32_e32 v98, v53
	;; [unrolled: 5-line block ×4, first 2 shown]
	v_pk_add_f32 v[52:53], v[70:71], v[68:69] neg_lo:[0,1] neg_hi:[0,1]
	v_pk_add_f32 v[104:105], v[70:71], v[68:69]
	s_mov_b32 s27, 0x3f62ad3f
	s_mov_b32 s26, 0xbeedf032
	;; [unrolled: 1-line block ×3, first 2 shown]
	v_mov_b32_e32 v94, v104
	v_mov_b32_e32 v95, v52
	;; [unrolled: 1-line block ×3, first 2 shown]
	v_pk_add_f32 v[52:53], v[72:73], v[66:67] neg_lo:[0,1] neg_hi:[0,1]
	v_pk_add_f32 v[102:103], v[72:73], v[66:67]
	v_pk_mul_f32 v[118:119], v[100:101], s[26:27]
	s_mov_b32 s48, s27
	s_mov_b32 s49, s26
	;; [unrolled: 1-line block ×4, first 2 shown]
	v_mov_b32_e32 v96, v102
	v_mov_b32_e32 v97, v52
	;; [unrolled: 1-line block ×3, first 2 shown]
	v_pk_fma_f32 v[52:53], v[86:87], s[48:49], v[118:119] neg_lo:[0,0,1] neg_hi:[0,0,1]
	v_pk_fma_f32 v[120:121], v[86:87], s[48:49], v[118:119]
	v_pk_mul_f32 v[122:123], v[98:99], s[42:43]
	s_mov_b32 s16, s43
	s_mov_b32 s17, s42
	;; [unrolled: 1-line block ×3, first 2 shown]
	v_mov_b32_e32 v53, v121
	v_pk_fma_f32 v[84:85], v[88:89], s[16:17], v[122:123] neg_lo:[0,0,1] neg_hi:[0,0,1]
	v_pk_fma_f32 v[124:125], v[88:89], s[16:17], v[122:123]
	s_mov_b32 s0, s39
	s_mov_b32 s1, s38
	v_pk_add_f32 v[52:53], v[80:81], v[52:53]
	v_mov_b32_e32 v85, v125
	v_pk_mul_f32 v[128:129], v[108:109], s[38:39]
	s_mov_b32 s30, 0xbf6f5d39
	v_pk_add_f32 v[52:53], v[84:85], v[52:53]
	v_pk_fma_f32 v[84:85], v[90:91], s[0:1], v[128:129] neg_lo:[0,0,1] neg_hi:[0,0,1]
	v_pk_fma_f32 v[126:127], v[90:91], s[0:1], v[128:129]
	s_mov_b32 s31, 0xbeb58ec6
	v_mov_b32_e32 v85, v127
	v_pk_mul_f32 v[130:131], v[106:107], s[30:31]
	s_mov_b32 s18, s31
	s_mov_b32 s19, s30
	s_mov_b32 s40, 0xbf29c268
	v_pk_add_f32 v[52:53], v[84:85], v[52:53]
	v_pk_fma_f32 v[84:85], v[92:93], s[18:19], v[130:131] neg_lo:[0,0,1] neg_hi:[0,0,1]
	v_pk_fma_f32 v[132:133], v[92:93], s[18:19], v[130:131]
	s_mov_b32 s41, 0xbf3f9e67
	s_mov_b32 s20, 0xbe750f2a
	v_mov_b32_e32 v85, v133
	v_pk_mul_f32 v[138:139], v[104:105], s[40:41]
	s_mov_b32 s22, s41
	s_mov_b32 s23, s40
	;; [unrolled: 1-line block ×3, first 2 shown]
	v_pk_add_f32 v[52:53], v[84:85], v[52:53]
	v_pk_fma_f32 v[84:85], v[94:95], s[22:23], v[138:139] neg_lo:[0,0,1] neg_hi:[0,0,1]
	v_pk_fma_f32 v[144:145], v[94:95], s[22:23], v[138:139]
	s_mov_b32 s6, s21
	s_mov_b32 s7, s20
	v_mov_b32_e32 v85, v145
	v_pk_mul_f32 v[152:153], v[102:103], s[20:21]
	v_pk_add_f32 v[52:53], v[84:85], v[52:53]
	v_pk_fma_f32 v[84:85], v[96:97], s[6:7], v[152:153] neg_lo:[0,0,1] neg_hi:[0,0,1]
	v_pk_fma_f32 v[150:151], v[96:97], s[6:7], v[152:153]
	v_pk_mul_f32 v[136:137], v[100:101], s[42:43]
	v_mov_b32_e32 v85, v151
	v_pk_add_f32 v[52:53], v[84:85], v[52:53]
	v_pk_fma_f32 v[84:85], v[86:87], s[16:17], v[136:137] neg_lo:[0,0,1] neg_hi:[0,0,1]
	v_pk_fma_f32 v[134:135], v[86:87], s[16:17], v[136:137]
	v_pk_mul_f32 v[142:143], v[98:99], s[30:31]
	v_mov_b32_e32 v85, v135
	v_pk_fma_f32 v[146:147], v[88:89], s[18:19], v[142:143] neg_lo:[0,0,1] neg_hi:[0,0,1]
	v_pk_fma_f32 v[140:141], v[88:89], s[18:19], v[142:143]
	v_pk_add_f32 v[84:85], v[80:81], v[84:85]
	v_mov_b32_e32 v147, v141
	v_pk_mul_f32 v[148:149], v[108:109], s[20:21]
	v_pk_add_f32 v[84:85], v[146:147], v[84:85]
	v_pk_fma_f32 v[154:155], v[90:91], s[6:7], v[148:149] neg_lo:[0,0,1] neg_hi:[0,0,1]
	v_pk_fma_f32 v[146:147], v[90:91], s[6:7], v[148:149]
	s_mov_b32 s46, 0x3f29c268
	v_mov_b32_e32 v155, v147
	s_mov_b32 s47, s41
	v_pk_add_f32 v[84:85], v[154:155], v[84:85]
	v_pk_mul_f32 v[154:155], v[106:107], s[46:47]
	s_mov_b32 s24, s41
	s_mov_b32 s25, s46
	v_pk_fma_f32 v[158:159], v[92:93], s[24:25], v[154:155] neg_lo:[0,0,1] neg_hi:[0,0,1]
	v_pk_fma_f32 v[156:157], v[92:93], s[24:25], v[154:155]
	s_mov_b32 s44, 0x3f7e222b
	v_mov_b32_e32 v159, v157
	s_mov_b32 s45, s39
	v_pk_add_f32 v[84:85], v[158:159], v[84:85]
	v_pk_mul_f32 v[158:159], v[104:105], s[44:45]
	s_mov_b32 s36, s39
	s_mov_b32 s37, s44
	v_pk_mul_f32 v[114:115], v[100:101], s[38:39]
	v_pk_fma_f32 v[162:163], v[94:95], s[36:37], v[158:159] neg_lo:[0,0,1] neg_hi:[0,0,1]
	v_pk_fma_f32 v[160:161], v[94:95], s[36:37], v[158:159]
	v_pk_fma_f32 v[82:83], v[86:87], s[0:1], v[114:115] neg_lo:[0,0,1] neg_hi:[0,0,1]
	v_pk_fma_f32 v[110:111], v[86:87], s[0:1], v[114:115]
	v_pk_mul_f32 v[116:117], v[98:99], s[20:21]
	v_mov_b32_e32 v163, v161
	s_mov_b32 s26, 0x3eedf032
	v_pk_fma_f32 v[166:167], v[88:89], s[6:7], v[116:117] neg_lo:[0,0,1] neg_hi:[0,0,1]
	v_pk_fma_f32 v[112:113], v[88:89], s[6:7], v[116:117]
	v_pk_add_f32 v[84:85], v[162:163], v[84:85]
	v_pk_mul_f32 v[162:163], v[102:103], s[26:27]
	s_mov_b32 s28, s27
	s_mov_b32 s29, s26
	v_mov_b32_e32 v83, v111
	v_pk_fma_f32 v[168:169], v[96:97], s[28:29], v[162:163] neg_lo:[0,0,1] neg_hi:[0,0,1]
	v_pk_fma_f32 v[164:165], v[96:97], s[28:29], v[162:163]
	v_pk_add_f32 v[82:83], v[80:81], v[82:83]
	v_mov_b32_e32 v167, v113
	s_mov_b32 s34, 0x3f6f5d39
	s_mov_b32 s35, s31
	v_mov_b32_e32 v169, v165
	v_pk_add_f32 v[82:83], v[166:167], v[82:83]
	v_pk_mul_f32 v[166:167], v[108:109], s[34:35]
	s_mov_b32 s50, s31
	s_mov_b32 s51, s34
	v_pk_add_f32 v[84:85], v[168:169], v[84:85]
	v_pk_fma_f32 v[170:171], v[90:91], s[50:51], v[166:167] neg_lo:[0,0,1] neg_hi:[0,0,1]
	v_pk_fma_f32 v[168:169], v[90:91], s[50:51], v[166:167]
	v_pk_mul_f32 v[172:173], v[106:107], s[26:27]
	v_mov_b32_e32 v171, v169
	v_pk_add_f32 v[82:83], v[170:171], v[82:83]
	v_pk_fma_f32 v[174:175], v[92:93], s[28:29], v[172:173] neg_lo:[0,0,1] neg_hi:[0,0,1]
	v_pk_fma_f32 v[170:171], v[92:93], s[28:29], v[172:173]
	v_pk_mul_f32 v[176:177], v[104:105], s[42:43]
	v_mov_b32_e32 v175, v171
	;; [unrolled: 5-line block ×3, first 2 shown]
	v_pk_add_f32 v[82:83], v[178:179], v[82:83]
	v_pk_fma_f32 v[188:189], v[96:97], s[22:23], v[180:181] neg_lo:[0,0,1] neg_hi:[0,0,1]
	v_pk_fma_f32 v[178:179], v[96:97], s[22:23], v[180:181]
	s_nop 0
	v_mov_b32_e32 v189, v179
	v_pk_add_f32 v[82:83], v[188:189], v[82:83]
	s_barrier
	s_and_saveexec_b64 s[34:35], s[4:5]
	s_cbranch_execz .LBB0_17
; %bb.16:
	v_pk_add_f32 v[54:55], v[54:55], v[80:81]
	v_pk_mul_f32 v[192:193], v[86:87], s[48:49]
	v_pk_add_f32 v[54:55], v[56:57], v[54:55]
	v_pk_mul_f32 v[194:195], v[88:89], s[16:17]
	;; [unrolled: 2-line block ×7, first 2 shown]
	v_pk_add_f32 v[54:55], v[68:69], v[54:55]
	v_lshl_add_u32 v75, v183, 3, v77
	v_pk_add_f32 v[54:55], v[58:59], v[54:55]
	v_pk_mul_f32 v[208:209], v[90:91], s[6:7]
	v_pk_add_f32 v[54:55], v[60:61], v[54:55]
	v_pk_mul_f32 v[210:211], v[92:93], s[24:25]
	v_pk_add_f32 v[48:49], v[48:49], v[54:55]
	v_pk_add_f32 v[54:55], v[122:123], v[194:195] neg_lo:[0,1] neg_hi:[0,1]
	v_pk_add_f32 v[48:49], v[50:51], v[48:49]
	v_pk_add_f32 v[50:51], v[118:119], v[192:193] neg_lo:[0,1] neg_hi:[0,1]
	v_mov_b32_e32 v125, v55
	v_mov_b32_e32 v121, v51
	v_pk_add_f32 v[50:51], v[80:81], v[120:121]
	v_pk_add_f32 v[54:55], v[128:129], v[196:197] neg_lo:[0,1] neg_hi:[0,1]
	v_pk_add_f32 v[50:51], v[124:125], v[50:51]
	v_mov_b32_e32 v127, v55
	v_pk_add_f32 v[54:55], v[130:131], v[198:199] neg_lo:[0,1] neg_hi:[0,1]
	v_pk_add_f32 v[50:51], v[126:127], v[50:51]
	v_mov_b32_e32 v133, v55
	;; [unrolled: 3-line block ×4, first 2 shown]
	v_pk_add_f32 v[50:51], v[150:151], v[50:51]
	ds_write2_b64 v75, v[48:49], v[50:51] offset1:1
	v_pk_add_f32 v[50:51], v[142:143], v[206:207] neg_lo:[0,1] neg_hi:[0,1]
	v_pk_mul_f32 v[188:189], v[86:87], s[0:1]
	v_mov_b32_e32 v141, v51
	v_pk_add_f32 v[50:51], v[148:149], v[208:209] neg_lo:[0,1] neg_hi:[0,1]
	v_pk_mul_f32 v[204:205], v[86:87], s[16:17]
	v_pk_mul_f32 v[212:213], v[94:95], s[36:37]
	v_mov_b32_e32 v147, v51
	v_pk_add_f32 v[50:51], v[154:155], v[210:211] neg_lo:[0,1] neg_hi:[0,1]
	v_pk_mul_f32 v[190:191], v[88:89], s[6:7]
	v_pk_mul_f32 v[214:215], v[96:97], s[28:29]
	v_pk_add_f32 v[114:115], v[114:115], v[188:189] neg_lo:[0,1] neg_hi:[0,1]
	v_pk_add_f32 v[48:49], v[136:137], v[204:205] neg_lo:[0,1] neg_hi:[0,1]
	v_mov_b32_e32 v157, v51
	v_pk_add_f32 v[50:51], v[158:159], v[212:213] neg_lo:[0,1] neg_hi:[0,1]
	v_pk_mul_f32 v[216:217], v[90:91], s[50:51]
	v_mov_b32_e32 v111, v115
	v_pk_add_f32 v[114:115], v[116:117], v[190:191] neg_lo:[0,1] neg_hi:[0,1]
	v_mov_b32_e32 v135, v49
	v_mov_b32_e32 v161, v51
	v_pk_add_f32 v[50:51], v[162:163], v[214:215] neg_lo:[0,1] neg_hi:[0,1]
	v_pk_mul_f32 v[218:219], v[92:93], s[28:29]
	v_mov_b32_e32 v113, v115
	v_pk_add_f32 v[48:49], v[80:81], v[134:135]
	v_mov_b32_e32 v165, v51
	v_pk_add_f32 v[50:51], v[80:81], v[110:111]
	v_pk_add_f32 v[54:55], v[166:167], v[216:217] neg_lo:[0,1] neg_hi:[0,1]
	v_pk_mul_f32 v[220:221], v[94:95], s[16:17]
	v_pk_add_f32 v[48:49], v[140:141], v[48:49]
	v_pk_add_f32 v[50:51], v[112:113], v[50:51]
	v_mov_b32_e32 v169, v55
	v_pk_add_f32 v[54:55], v[172:173], v[218:219] neg_lo:[0,1] neg_hi:[0,1]
	v_pk_mul_f32 v[222:223], v[96:97], s[22:23]
	v_pk_add_f32 v[48:49], v[146:147], v[48:49]
	v_pk_add_f32 v[50:51], v[168:169], v[50:51]
	v_mov_b32_e32 v171, v55
	v_pk_add_f32 v[54:55], v[176:177], v[220:221] neg_lo:[0,1] neg_hi:[0,1]
	v_pk_add_f32 v[48:49], v[156:157], v[48:49]
	v_pk_add_f32 v[50:51], v[170:171], v[50:51]
	v_mov_b32_e32 v175, v55
	v_pk_add_f32 v[54:55], v[180:181], v[222:223] neg_lo:[0,1] neg_hi:[0,1]
	v_pk_add_f32 v[48:49], v[160:161], v[48:49]
	v_pk_add_f32 v[50:51], v[174:175], v[50:51]
	v_mov_b32_e32 v179, v55
	v_pk_add_f32 v[48:49], v[164:165], v[48:49]
	v_pk_add_f32 v[50:51], v[178:179], v[50:51]
	ds_write2_b64 v75, v[48:49], v[50:51] offset0:2 offset1:3
	v_pk_mul_f32 v[48:49], v[100:101], s[30:31]
	v_pk_mul_f32 v[56:57], v[98:99], s[46:47]
	v_pk_fma_f32 v[50:51], v[86:87], s[18:19], v[48:49]
	v_pk_fma_f32 v[54:55], v[86:87], s[18:19], v[48:49] neg_lo:[1,0,0] neg_hi:[1,0,0]
	v_pk_fma_f32 v[58:59], v[88:89], s[24:25], v[56:57]
	v_mov_b32_e32 v54, v50
	v_pk_fma_f32 v[60:61], v[88:89], s[24:25], v[56:57] neg_lo:[1,0,0] neg_hi:[1,0,0]
	v_pk_add_f32 v[54:55], v[80:81], v[54:55]
	v_mov_b32_e32 v60, v58
	v_pk_add_f32 v[54:55], v[60:61], v[54:55]
	v_pk_mul_f32 v[60:61], v[108:109], s[26:27]
	s_mov_b32 s49, s21
	v_pk_fma_f32 v[62:63], v[90:91], s[28:29], v[60:61]
	v_pk_fma_f32 v[64:65], v[90:91], s[28:29], v[60:61] neg_lo:[1,0,0] neg_hi:[1,0,0]
	s_mov_b32 s47, 0x3f52af12
	v_mov_b32_e32 v64, v62
	v_pk_add_f32 v[54:55], v[64:65], v[54:55]
	v_pk_mul_f32 v[64:65], v[106:107], s[38:39]
	s_mov_b32 s39, 0x3e750f2a
	v_pk_fma_f32 v[66:67], v[92:93], s[0:1], v[64:65]
	v_pk_fma_f32 v[68:69], v[92:93], s[0:1], v[64:65] neg_lo:[1,0,0] neg_hi:[1,0,0]
	s_mov_b32 s48, s39
	v_mov_b32_e32 v68, v66
	v_pk_add_f32 v[54:55], v[68:69], v[54:55]
	s_mov_b32 s38, s21
	v_pk_mul_f32 v[68:69], v[104:105], s[48:49]
	s_mov_b32 s50, s47
	v_pk_fma_f32 v[70:71], v[94:95], s[38:39], v[68:69]
	v_pk_fma_f32 v[72:73], v[94:95], s[38:39], v[68:69] neg_lo:[1,0,0] neg_hi:[1,0,0]
	s_mov_b32 s51, s43
	v_mov_b32_e32 v72, v70
	v_pk_add_f32 v[54:55], v[72:73], v[54:55]
	s_mov_b32 s46, s43
	v_pk_mul_f32 v[72:73], v[102:103], s[50:51]
	v_pk_mul_f32 v[118:119], v[98:99], s[44:45]
	v_pk_fma_f32 v[110:111], v[96:97], s[46:47], v[72:73]
	v_pk_fma_f32 v[112:113], v[96:97], s[46:47], v[72:73] neg_lo:[1,0,0] neg_hi:[1,0,0]
	v_pk_fma_f32 v[120:121], v[88:89], s[36:37], v[118:119]
	v_mov_b32_e32 v112, v110
	v_pk_add_f32 v[54:55], v[112:113], v[54:55]
	v_pk_mul_f32 v[112:113], v[100:101], s[40:41]
	v_pk_fma_f32 v[122:123], v[88:89], s[36:37], v[118:119] neg_lo:[1,0,0] neg_hi:[1,0,0]
	v_pk_fma_f32 v[114:115], v[86:87], s[22:23], v[112:113]
	v_pk_fma_f32 v[116:117], v[86:87], s[22:23], v[112:113] neg_lo:[1,0,0] neg_hi:[1,0,0]
	v_mov_b32_e32 v122, v120
	v_mov_b32_e32 v116, v114
	v_pk_add_f32 v[116:117], v[80:81], v[116:117]
	v_pk_mul_f32 v[98:99], v[98:99], s[26:27]
	v_pk_add_f32 v[116:117], v[122:123], v[116:117]
	v_pk_mul_f32 v[122:123], v[108:109], s[42:43]
	v_pk_fma_f32 v[140:141], v[88:89], s[28:29], v[98:99] neg_lo:[1,0,0] neg_hi:[1,0,0]
	v_pk_fma_f32 v[124:125], v[90:91], s[16:17], v[122:123]
	v_pk_fma_f32 v[126:127], v[90:91], s[16:17], v[122:123] neg_lo:[1,0,0] neg_hi:[1,0,0]
	v_pk_mul_f32 v[108:109], v[108:109], s[40:41]
	v_mov_b32_e32 v126, v124
	v_pk_add_f32 v[116:117], v[126:127], v[116:117]
	v_pk_mul_f32 v[126:127], v[106:107], s[48:49]
	v_pk_fma_f32 v[142:143], v[90:91], s[22:23], v[108:109] neg_lo:[1,0,0] neg_hi:[1,0,0]
	v_pk_fma_f32 v[128:129], v[92:93], s[38:39], v[126:127]
	v_pk_fma_f32 v[130:131], v[92:93], s[38:39], v[126:127] neg_lo:[1,0,0] neg_hi:[1,0,0]
	v_pk_mul_f32 v[106:107], v[106:107], s[50:51]
	v_mov_b32_e32 v130, v128
	;; [unrolled: 7-line block ×4, first 2 shown]
	v_pk_add_f32 v[116:117], v[138:139], v[116:117]
	ds_write2_b64 v75, v[54:55], v[116:117] offset0:4 offset1:5
	v_pk_mul_f32 v[54:55], v[100:101], s[20:21]
	v_pk_fma_f32 v[138:139], v[88:89], s[28:29], v[98:99]
	v_pk_fma_f32 v[100:101], v[86:87], s[6:7], v[54:55]
	v_pk_fma_f32 v[116:117], v[86:87], s[6:7], v[54:55] neg_lo:[1,0,0] neg_hi:[1,0,0]
	v_pk_fma_f32 v[54:55], v[86:87], s[6:7], v[54:55] neg_lo:[0,0,1] neg_hi:[0,0,1]
	v_mov_b32_e32 v116, v100
	v_mov_b32_e32 v55, v101
	v_pk_fma_f32 v[98:99], v[88:89], s[28:29], v[98:99] neg_lo:[0,0,1] neg_hi:[0,0,1]
	v_pk_add_f32 v[116:117], v[80:81], v[116:117]
	v_mov_b32_e32 v140, v138
	v_pk_add_f32 v[54:55], v[80:81], v[54:55]
	v_mov_b32_e32 v99, v139
	v_pk_add_f32 v[116:117], v[140:141], v[116:117]
	v_pk_fma_f32 v[140:141], v[90:91], s[22:23], v[108:109]
	v_pk_add_f32 v[54:55], v[98:99], v[54:55]
	v_pk_fma_f32 v[98:99], v[90:91], s[22:23], v[108:109] neg_lo:[0,0,1] neg_hi:[0,0,1]
	v_mov_b32_e32 v142, v140
	v_mov_b32_e32 v99, v141
	v_pk_add_f32 v[116:117], v[142:143], v[116:117]
	v_pk_fma_f32 v[142:143], v[92:93], s[46:47], v[106:107]
	v_pk_add_f32 v[54:55], v[98:99], v[54:55]
	v_pk_fma_f32 v[98:99], v[92:93], s[46:47], v[106:107] neg_lo:[0,0,1] neg_hi:[0,0,1]
	v_mov_b32_e32 v144, v142
	;; [unrolled: 6-line block ×3, first 2 shown]
	v_mov_b32_e32 v99, v145
	v_pk_add_f32 v[116:117], v[146:147], v[116:117]
	v_pk_fma_f32 v[146:147], v[96:97], s[36:37], v[102:103]
	v_pk_fma_f32 v[148:149], v[96:97], s[36:37], v[102:103] neg_lo:[1,0,0] neg_hi:[1,0,0]
	v_pk_add_f32 v[54:55], v[98:99], v[54:55]
	v_pk_fma_f32 v[98:99], v[96:97], s[36:37], v[102:103] neg_lo:[0,0,1] neg_hi:[0,0,1]
	v_mov_b32_e32 v148, v146
	v_mov_b32_e32 v99, v147
	v_pk_add_f32 v[116:117], v[148:149], v[116:117]
	v_pk_add_f32 v[54:55], v[98:99], v[54:55]
	ds_write2_b64 v75, v[116:117], v[54:55] offset0:6 offset1:7
	v_pk_fma_f32 v[54:55], v[86:87], s[22:23], v[112:113] neg_lo:[0,0,1] neg_hi:[0,0,1]
	v_pk_fma_f32 v[48:49], v[86:87], s[18:19], v[48:49] neg_lo:[0,0,1] neg_hi:[0,0,1]
	v_mov_b32_e32 v55, v115
	v_pk_fma_f32 v[98:99], v[88:89], s[36:37], v[118:119] neg_lo:[0,0,1] neg_hi:[0,0,1]
	v_mov_b32_e32 v49, v51
	v_pk_fma_f32 v[50:51], v[88:89], s[24:25], v[56:57] neg_lo:[0,0,1] neg_hi:[0,0,1]
	v_pk_add_f32 v[54:55], v[80:81], v[54:55]
	v_mov_b32_e32 v99, v121
	v_pk_add_f32 v[48:49], v[80:81], v[48:49]
	v_mov_b32_e32 v51, v59
	v_pk_add_f32 v[54:55], v[98:99], v[54:55]
	v_pk_fma_f32 v[98:99], v[90:91], s[16:17], v[122:123] neg_lo:[0,0,1] neg_hi:[0,0,1]
	v_pk_add_f32 v[48:49], v[50:51], v[48:49]
	v_pk_fma_f32 v[50:51], v[90:91], s[28:29], v[60:61] neg_lo:[0,0,1] neg_hi:[0,0,1]
	v_mov_b32_e32 v99, v125
	v_mov_b32_e32 v51, v63
	v_pk_add_f32 v[54:55], v[98:99], v[54:55]
	v_pk_fma_f32 v[98:99], v[92:93], s[38:39], v[126:127] neg_lo:[0,0,1] neg_hi:[0,0,1]
	v_pk_add_f32 v[48:49], v[50:51], v[48:49]
	v_pk_fma_f32 v[50:51], v[92:93], s[0:1], v[64:65] neg_lo:[0,0,1] neg_hi:[0,0,1]
	v_mov_b32_e32 v99, v129
	;; [unrolled: 6-line block ×4, first 2 shown]
	v_mov_b32_e32 v51, v111
	v_pk_add_f32 v[54:55], v[98:99], v[54:55]
	v_pk_add_f32 v[48:49], v[50:51], v[48:49]
	ds_write2_b64 v75, v[54:55], v[48:49] offset0:8 offset1:9
	ds_write2_b64 v75, v[82:83], v[84:85] offset0:10 offset1:11
	ds_write_b64 v75, v[52:53] offset:96
.LBB0_17:
	s_or_b64 exec, exec, s[34:35]
	v_add_u32_e32 v48, 0x800, v79
	v_add_u32_e32 v49, 0x1000, v79
	s_waitcnt lgkmcnt(0)
	s_barrier
	ds_read2_b64 v[54:57], v79 offset1:65
	ds_read2_b64 v[70:73], v79 offset0:143 offset1:208
	ds_read2_b64 v[66:69], v48 offset0:30 offset1:95
	;; [unrolled: 1-line block ×4, first 2 shown]
	v_mov_b32_e32 v112, v12
	v_mov_b32_e32 v113, v12
	;; [unrolled: 1-line block ×24, first 2 shown]
	s_and_saveexec_b64 s[0:1], s[2:3]
	s_cbranch_execz .LBB0_19
; %bb.18:
	ds_read_b64 v[82:83], v79 offset:1040
	ds_read2_b64 v[50:53], v48 offset0:17 offset1:160
	ds_read2_b64 v[16:19], v49 offset0:47 offset1:190
	s_waitcnt lgkmcnt(1)
	v_mov_b64_e32 v[84:85], v[50:51]
.LBB0_19:
	s_or_b64 exec, exec, s[0:1]
	s_waitcnt lgkmcnt(3)
	v_pk_mul_f32 v[12:13], v[12:13], v[70:71]
	s_waitcnt lgkmcnt(2)
	v_pk_mul_f32 v[14:15], v[14:15], v[66:67]
	v_pk_fma_f32 v[114:115], v[112:113], v[70:71], v[12:13] op_sel:[0,0,1] op_sel_hi:[1,1,0]
	v_pk_fma_f32 v[12:13], v[112:113], v[70:71], v[12:13] op_sel:[0,0,1] op_sel_hi:[1,1,0] neg_lo:[0,0,1] neg_hi:[0,0,1]
	s_waitcnt lgkmcnt(1)
	v_pk_mul_f32 v[8:9], v[8:9], v[62:63]
	v_mov_b32_e32 v115, v13
	v_pk_fma_f32 v[12:13], v[110:111], v[66:67], v[14:15] op_sel:[0,0,1] op_sel_hi:[1,1,0]
	v_pk_fma_f32 v[14:15], v[110:111], v[66:67], v[14:15] op_sel:[0,0,1] op_sel_hi:[1,1,0] neg_lo:[0,0,1] neg_hi:[0,0,1]
	s_waitcnt lgkmcnt(0)
	v_pk_mul_f32 v[10:11], v[10:11], v[58:59]
	v_mov_b32_e32 v13, v15
	v_pk_fma_f32 v[14:15], v[108:109], v[62:63], v[8:9] op_sel:[0,0,1] op_sel_hi:[1,1,0]
	v_pk_fma_f32 v[8:9], v[108:109], v[62:63], v[8:9] op_sel:[0,0,1] op_sel_hi:[1,1,0] neg_lo:[0,0,1] neg_hi:[0,0,1]
	s_mov_b32 s6, 0x3f737871
	v_mov_b32_e32 v15, v9
	v_pk_fma_f32 v[8:9], v[106:107], v[58:59], v[10:11] op_sel:[0,0,1] op_sel_hi:[1,1,0]
	v_pk_fma_f32 v[10:11], v[106:107], v[58:59], v[10:11] op_sel:[0,0,1] op_sel_hi:[1,1,0] neg_lo:[0,0,1] neg_hi:[0,0,1]
	v_pk_add_f32 v[58:59], v[12:13], v[14:15]
	v_mov_b32_e32 v9, v11
	v_pk_add_f32 v[62:63], v[114:115], v[8:9] neg_lo:[0,1] neg_hi:[0,1]
	v_pk_fma_f32 v[58:59], v[58:59], 0.5, v[54:55] op_sel_hi:[1,0,1] neg_lo:[1,0,0] neg_hi:[1,0,0]
	v_pk_mul_f32 v[66:67], v[62:63], s[6:7] op_sel_hi:[1,0]
	v_pk_add_f32 v[70:71], v[12:13], v[14:15] neg_lo:[0,1] neg_hi:[0,1]
	s_mov_b32 s16, 0x3f167918
	v_pk_add_f32 v[108:109], v[114:115], v[12:13] neg_lo:[0,1] neg_hi:[0,1]
	v_pk_add_f32 v[110:111], v[8:9], v[14:15] neg_lo:[0,1] neg_hi:[0,1]
	v_pk_add_f32 v[10:11], v[54:55], v[114:115]
	v_pk_mul_f32 v[106:107], v[70:71], s[16:17] op_sel_hi:[1,0]
	v_pk_add_f32 v[108:109], v[108:109], v[110:111]
	v_pk_add_f32 v[110:111], v[58:59], v[66:67] op_sel:[0,1] op_sel_hi:[1,0] neg_lo:[0,1] neg_hi:[0,1]
	v_pk_add_f32 v[58:59], v[58:59], v[66:67] op_sel:[0,1] op_sel_hi:[1,0]
	v_pk_add_f32 v[10:11], v[10:11], v[12:13]
	v_pk_add_f32 v[58:59], v[58:59], v[106:107] op_sel:[0,1] op_sel_hi:[1,0]
	v_pk_add_f32 v[66:67], v[110:111], v[106:107] op_sel:[0,1] op_sel_hi:[1,0] neg_lo:[0,1] neg_hi:[0,1]
	v_pk_add_f32 v[10:11], v[10:11], v[14:15]
	s_mov_b32 s0, 0x3e9e377a
	v_mov_b32_e32 v106, v66
	v_mov_b32_e32 v107, v59
	v_pk_add_f32 v[10:11], v[10:11], v[8:9]
	v_pk_fma_f32 v[106:107], v[108:109], s[0:1], v[106:107] op_sel_hi:[1,0,1]
	s_barrier
	ds_write2_b64 v184, v[10:11], v[106:107] offset1:13
	v_pk_add_f32 v[10:11], v[114:115], v[8:9]
	v_pk_add_f32 v[12:13], v[12:13], v[114:115] neg_lo:[0,1] neg_hi:[0,1]
	v_pk_add_f32 v[8:9], v[14:15], v[8:9] neg_lo:[0,1] neg_hi:[0,1]
	v_pk_fma_f32 v[10:11], v[10:11], 0.5, v[54:55] op_sel_hi:[1,0,1] neg_lo:[1,0,0] neg_hi:[1,0,0]
	v_pk_add_f32 v[8:9], v[12:13], v[8:9]
	v_pk_mul_f32 v[12:13], v[70:71], s[6:7] op_sel_hi:[1,0]
	v_pk_mul_f32 v[14:15], v[62:63], s[16:17] op_sel_hi:[1,0]
	v_pk_add_f32 v[54:55], v[10:11], v[12:13] op_sel:[0,1] op_sel_hi:[1,0]
	v_pk_add_f32 v[10:11], v[10:11], v[12:13] op_sel:[0,1] op_sel_hi:[1,0] neg_lo:[0,1] neg_hi:[0,1]
	v_pk_add_f32 v[12:13], v[54:55], v[14:15] op_sel:[0,1] op_sel_hi:[1,0] neg_lo:[0,1] neg_hi:[0,1]
	v_pk_add_f32 v[10:11], v[10:11], v[14:15] op_sel:[0,1] op_sel_hi:[1,0]
	v_mov_b32_e32 v14, v12
	v_mov_b32_e32 v15, v11
	;; [unrolled: 1-line block ×3, first 2 shown]
	v_pk_fma_f32 v[14:15], v[8:9], s[0:1], v[14:15] op_sel_hi:[1,0,1]
	v_pk_fma_f32 v[8:9], v[8:9], s[0:1], v[10:11] op_sel_hi:[1,0,1]
	v_mov_b32_e32 v59, v67
	v_pk_mul_f32 v[36:37], v[36:37], v[72:73]
	ds_write2_b64 v184, v[14:15], v[8:9] offset0:26 offset1:39
	v_pk_fma_f32 v[8:9], v[108:109], s[0:1], v[58:59] op_sel_hi:[1,0,1]
	v_pk_mul_f32 v[38:39], v[38:39], v[68:69]
	ds_write_b64 v184, v[8:9] offset:416
	v_pk_fma_f32 v[8:9], v[102:103], v[72:73], v[36:37] op_sel:[0,0,1] op_sel_hi:[1,1,0]
	v_pk_fma_f32 v[10:11], v[102:103], v[72:73], v[36:37] op_sel:[0,0,1] op_sel_hi:[1,1,0] neg_lo:[0,0,1] neg_hi:[0,0,1]
	v_pk_mul_f32 v[32:33], v[32:33], v[64:65]
	v_mov_b32_e32 v9, v11
	v_pk_fma_f32 v[10:11], v[100:101], v[68:69], v[38:39] op_sel:[0,0,1] op_sel_hi:[1,1,0]
	v_pk_fma_f32 v[12:13], v[100:101], v[68:69], v[38:39] op_sel:[0,0,1] op_sel_hi:[1,1,0] neg_lo:[0,0,1] neg_hi:[0,0,1]
	v_pk_mul_f32 v[34:35], v[34:35], v[60:61]
	v_mov_b32_e32 v11, v13
	v_pk_fma_f32 v[12:13], v[98:99], v[64:65], v[32:33] op_sel:[0,0,1] op_sel_hi:[1,1,0]
	v_pk_fma_f32 v[14:15], v[98:99], v[64:65], v[32:33] op_sel:[0,0,1] op_sel_hi:[1,1,0] neg_lo:[0,0,1] neg_hi:[0,0,1]
	v_pk_fma_f32 v[32:33], v[104:105], v[60:61], v[34:35] op_sel:[0,0,1] op_sel_hi:[1,1,0] neg_lo:[0,0,1] neg_hi:[0,0,1]
	v_mov_b32_e32 v13, v15
	v_pk_fma_f32 v[14:15], v[104:105], v[60:61], v[34:35] op_sel:[0,0,1] op_sel_hi:[1,1,0]
	v_pk_add_f32 v[34:35], v[10:11], v[12:13]
	v_mov_b32_e32 v15, v33
	v_pk_add_f32 v[36:37], v[8:9], v[14:15] neg_lo:[0,1] neg_hi:[0,1]
	v_pk_fma_f32 v[34:35], v[34:35], 0.5, v[56:57] op_sel_hi:[1,0,1] neg_lo:[1,0,0] neg_hi:[1,0,0]
	v_pk_mul_f32 v[38:39], v[36:37], s[6:7] op_sel_hi:[1,0]
	v_pk_add_f32 v[54:55], v[10:11], v[12:13] neg_lo:[0,1] neg_hi:[0,1]
	v_pk_add_f32 v[60:61], v[8:9], v[10:11] neg_lo:[0,1] neg_hi:[0,1]
	;; [unrolled: 1-line block ×3, first 2 shown]
	v_pk_add_f32 v[32:33], v[56:57], v[8:9]
	v_pk_mul_f32 v[58:59], v[54:55], s[16:17] op_sel_hi:[1,0]
	v_pk_add_f32 v[60:61], v[60:61], v[62:63]
	v_pk_add_f32 v[62:63], v[34:35], v[38:39] op_sel:[0,1] op_sel_hi:[1,0] neg_lo:[0,1] neg_hi:[0,1]
	v_pk_add_f32 v[34:35], v[34:35], v[38:39] op_sel:[0,1] op_sel_hi:[1,0]
	v_pk_add_f32 v[32:33], v[32:33], v[10:11]
	v_pk_add_f32 v[34:35], v[34:35], v[58:59] op_sel:[0,1] op_sel_hi:[1,0]
	v_pk_add_f32 v[38:39], v[62:63], v[58:59] op_sel:[0,1] op_sel_hi:[1,0] neg_lo:[0,1] neg_hi:[0,1]
	v_pk_add_f32 v[32:33], v[32:33], v[12:13]
	v_mov_b32_e32 v58, v38
	v_mov_b32_e32 v59, v35
	v_pk_add_f32 v[32:33], v[32:33], v[14:15]
	v_pk_fma_f32 v[58:59], v[60:61], s[0:1], v[58:59] op_sel_hi:[1,0,1]
	ds_write2_b64 v185, v[32:33], v[58:59] offset1:13
	v_pk_add_f32 v[32:33], v[8:9], v[14:15]
	v_pk_add_f32 v[8:9], v[10:11], v[8:9] neg_lo:[0,1] neg_hi:[0,1]
	v_pk_add_f32 v[10:11], v[12:13], v[14:15] neg_lo:[0,1] neg_hi:[0,1]
	v_pk_fma_f32 v[32:33], v[32:33], 0.5, v[56:57] op_sel_hi:[1,0,1] neg_lo:[1,0,0] neg_hi:[1,0,0]
	v_pk_add_f32 v[8:9], v[8:9], v[10:11]
	v_pk_mul_f32 v[10:11], v[54:55], s[6:7] op_sel_hi:[1,0]
	v_pk_mul_f32 v[12:13], v[36:37], s[16:17] op_sel_hi:[1,0]
	v_pk_add_f32 v[14:15], v[32:33], v[10:11] op_sel:[0,1] op_sel_hi:[1,0]
	v_pk_add_f32 v[10:11], v[32:33], v[10:11] op_sel:[0,1] op_sel_hi:[1,0] neg_lo:[0,1] neg_hi:[0,1]
	v_mov_b32_e32 v35, v39
	v_pk_add_f32 v[10:11], v[10:11], v[12:13] op_sel:[0,1] op_sel_hi:[1,0]
	v_pk_add_f32 v[12:13], v[14:15], v[12:13] op_sel:[0,1] op_sel_hi:[1,0] neg_lo:[0,1] neg_hi:[0,1]
	v_mov_b32_e32 v15, v11
	v_mov_b32_e32 v14, v12
	;; [unrolled: 1-line block ×3, first 2 shown]
	v_pk_fma_f32 v[14:15], v[8:9], s[0:1], v[14:15] op_sel_hi:[1,0,1]
	v_pk_fma_f32 v[8:9], v[8:9], s[0:1], v[10:11] op_sel_hi:[1,0,1]
	v_mov_b32_e32 v50, v28
	v_mov_b32_e32 v51, v28
	;; [unrolled: 1-line block ×27, first 2 shown]
	ds_write2_b64 v185, v[14:15], v[8:9] offset0:26 offset1:39
	v_pk_fma_f32 v[8:9], v[60:61], s[0:1], v[34:35] op_sel_hi:[1,0,1]
	ds_write_b64 v185, v[8:9] offset:416
	s_and_saveexec_b64 s[18:19], s[2:3]
	s_cbranch_execz .LBB0_21
; %bb.20:
	v_pk_mul_f32 v[8:9], v[6:7], v[52:53] op_sel:[0,1]
	v_and_b32_e32 v32, 0xff, v182
	v_pk_mul_f32 v[10:11], v[4:5], v[84:85] op_sel:[0,1]
	v_lshl_add_u32 v36, v32, 3, v77
	v_pk_fma_f32 v[32:33], v[6:7], v[52:53], v[8:9] op_sel:[0,0,1] op_sel_hi:[1,1,0]
	v_pk_fma_f32 v[6:7], v[6:7], v[52:53], v[8:9] op_sel:[0,0,1] op_sel_hi:[1,0,0] neg_lo:[1,0,0] neg_hi:[1,0,0]
	v_pk_mul_f32 v[12:13], v[0:1], v[16:17] op_sel:[0,1]
	v_mov_b32_e32 v33, v7
	v_pk_fma_f32 v[6:7], v[4:5], v[84:85], v[10:11] op_sel:[0,0,1] op_sel_hi:[1,1,0]
	v_pk_fma_f32 v[4:5], v[4:5], v[84:85], v[10:11] op_sel:[0,0,1] op_sel_hi:[1,0,0] neg_lo:[1,0,0] neg_hi:[1,0,0]
	v_pk_mul_f32 v[14:15], v[2:3], v[18:19] op_sel:[0,1]
	v_mov_b32_e32 v7, v5
	v_pk_fma_f32 v[4:5], v[0:1], v[16:17], v[12:13] op_sel:[0,0,1] op_sel_hi:[1,1,0]
	v_pk_fma_f32 v[0:1], v[0:1], v[16:17], v[12:13] op_sel:[0,0,1] op_sel_hi:[1,0,0] neg_lo:[1,0,0] neg_hi:[1,0,0]
	s_nop 0
	v_mov_b32_e32 v5, v1
	v_pk_fma_f32 v[0:1], v[2:3], v[18:19], v[14:15] op_sel:[0,0,1] op_sel_hi:[1,1,0]
	v_pk_fma_f32 v[2:3], v[2:3], v[18:19], v[14:15] op_sel:[0,0,1] op_sel_hi:[1,0,0] neg_lo:[1,0,0] neg_hi:[1,0,0]
	v_pk_add_f32 v[12:13], v[32:33], v[4:5]
	v_mov_b32_e32 v1, v3
	v_pk_add_f32 v[10:11], v[6:7], v[0:1] neg_lo:[0,1] neg_hi:[0,1]
	v_pk_add_f32 v[8:9], v[32:33], v[4:5] neg_lo:[0,1] neg_hi:[0,1]
	v_pk_fma_f32 v[12:13], v[12:13], 0.5, v[82:83] op_sel_hi:[1,0,1] neg_lo:[1,0,0] neg_hi:[1,0,0]
	v_pk_mul_f32 v[14:15], v[10:11], s[6:7] op_sel_hi:[1,0]
	v_pk_add_f32 v[18:19], v[6:7], v[32:33] neg_lo:[0,1] neg_hi:[0,1]
	v_pk_add_f32 v[34:35], v[0:1], v[4:5] neg_lo:[0,1] neg_hi:[0,1]
	v_pk_add_f32 v[2:3], v[82:83], v[6:7]
	v_pk_mul_f32 v[16:17], v[8:9], s[16:17] op_sel_hi:[1,0]
	v_pk_add_f32 v[18:19], v[18:19], v[34:35]
	v_pk_add_f32 v[34:35], v[12:13], v[14:15] op_sel:[0,1] op_sel_hi:[1,0] neg_lo:[0,1] neg_hi:[0,1]
	v_pk_add_f32 v[12:13], v[12:13], v[14:15] op_sel:[0,1] op_sel_hi:[1,0]
	v_pk_add_f32 v[2:3], v[2:3], v[32:33]
	v_pk_add_f32 v[12:13], v[12:13], v[16:17] op_sel:[0,1] op_sel_hi:[1,0]
	v_pk_add_f32 v[14:15], v[34:35], v[16:17] op_sel:[0,1] op_sel_hi:[1,0] neg_lo:[0,1] neg_hi:[0,1]
	v_pk_add_f32 v[2:3], v[2:3], v[4:5]
	v_mov_b32_e32 v16, v14
	v_mov_b32_e32 v17, v13
	v_pk_add_f32 v[2:3], v[2:3], v[0:1]
	v_pk_fma_f32 v[16:17], v[18:19], s[0:1], v[16:17] op_sel_hi:[1,0,1]
	v_add_u32_e32 v13, 0x1000, v36
	ds_write2_b64 v13, v[2:3], v[16:17] offset0:138 offset1:151
	v_pk_add_f32 v[2:3], v[32:33], v[6:7] neg_lo:[0,1] neg_hi:[0,1]
	v_pk_add_f32 v[4:5], v[4:5], v[0:1] neg_lo:[0,1] neg_hi:[0,1]
	v_pk_add_f32 v[0:1], v[6:7], v[0:1]
	v_pk_add_f32 v[2:3], v[2:3], v[4:5]
	v_pk_fma_f32 v[0:1], v[0:1], 0.5, v[82:83] op_sel_hi:[1,0,1] neg_lo:[1,0,0] neg_hi:[1,0,0]
	v_pk_mul_f32 v[4:5], v[8:9], s[6:7] op_sel_hi:[1,0]
	v_pk_mul_f32 v[6:7], v[10:11], s[16:17] op_sel_hi:[1,0]
	v_pk_add_f32 v[8:9], v[0:1], v[4:5] op_sel:[0,1] op_sel_hi:[1,0]
	v_pk_add_f32 v[0:1], v[0:1], v[4:5] op_sel:[0,1] op_sel_hi:[1,0] neg_lo:[0,1] neg_hi:[0,1]
	v_pk_add_f32 v[4:5], v[8:9], v[6:7] op_sel:[0,1] op_sel_hi:[1,0] neg_lo:[0,1] neg_hi:[0,1]
	v_pk_add_f32 v[0:1], v[0:1], v[6:7] op_sel:[0,1] op_sel_hi:[1,0]
	v_mov_b32_e32 v6, v4
	v_mov_b32_e32 v7, v1
	;; [unrolled: 1-line block ×3, first 2 shown]
	v_pk_fma_f32 v[6:7], v[2:3], s[0:1], v[6:7] op_sel_hi:[1,0,1]
	v_pk_fma_f32 v[0:1], v[2:3], s[0:1], v[0:1] op_sel_hi:[1,0,1]
	ds_write2_b64 v13, v[6:7], v[0:1] offset0:164 offset1:177
	v_mov_b32_e32 v13, v15
	v_pk_fma_f32 v[0:1], v[18:19], s[0:1], v[12:13] op_sel_hi:[1,0,1]
	ds_write_b64 v36, v[0:1] offset:5616
.LBB0_21:
	s_or_b64 exec, exec, s[18:19]
	s_waitcnt lgkmcnt(0)
	s_barrier
	ds_read2_b64 v[4:7], v79 offset0:130 offset1:195
	ds_read2_b64 v[0:3], v79 offset1:65
	v_add_u32_e32 v12, 0x800, v79
	ds_read2_b64 v[8:11], v12 offset0:4 offset1:69
	ds_read2_b64 v[12:15], v12 offset0:134 offset1:199
	v_add_u32_e32 v16, 0x1000, v79
	s_waitcnt lgkmcnt(3)
	v_pk_mul_f32 v[26:27], v[26:27], v[4:5]
	ds_read2_b64 v[16:19], v16 offset0:8 offset1:73
	ds_read_b64 v[32:33], v79 offset:5200
	v_pk_fma_f32 v[34:35], v[96:97], v[4:5], v[26:27] op_sel:[0,0,1] op_sel_hi:[1,1,0]
	v_pk_fma_f32 v[4:5], v[96:97], v[4:5], v[26:27] op_sel:[0,0,1] op_sel_hi:[1,1,0] neg_lo:[0,0,1] neg_hi:[0,0,1]
	s_mov_b32 s18, 0xbf0a6770
	v_mov_b32_e32 v35, v5
	v_pk_mul_f32 v[4:5], v[44:45], v[6:7]
	s_mov_b32 s0, 0x3f575c64
	v_pk_fma_f32 v[26:27], v[94:95], v[6:7], v[4:5] op_sel:[0,0,1] op_sel_hi:[1,1,0]
	v_pk_fma_f32 v[4:5], v[94:95], v[6:7], v[4:5] op_sel:[0,0,1] op_sel_hi:[1,1,0] neg_lo:[0,0,1] neg_hi:[0,0,1]
	s_mov_b32 s28, 0xbf68dda4
	v_mov_b32_e32 v27, v5
	s_waitcnt lgkmcnt(3)
	v_pk_mul_f32 v[4:5], v[46:47], v[8:9]
	s_movk_i32 s3, 0x1000
	v_pk_fma_f32 v[6:7], v[92:93], v[8:9], v[4:5] op_sel:[0,0,1] op_sel_hi:[1,1,0]
	v_pk_fma_f32 v[4:5], v[92:93], v[8:9], v[4:5] op_sel:[0,0,1] op_sel_hi:[1,1,0] neg_lo:[0,0,1] neg_hi:[0,0,1]
	s_mov_b32 s2, 0x3ed4b147
	v_mov_b32_e32 v7, v5
	v_pk_mul_f32 v[4:5], v[40:41], v[10:11]
	s_mov_b32 s16, 0xbf7d64f0
	v_pk_fma_f32 v[8:9], v[90:91], v[10:11], v[4:5] op_sel:[0,0,1] op_sel_hi:[1,1,0]
	v_pk_fma_f32 v[4:5], v[90:91], v[10:11], v[4:5] op_sel:[0,0,1] op_sel_hi:[1,1,0] neg_lo:[0,0,1] neg_hi:[0,0,1]
	s_mov_b32 s6, 0xbe11bafb
	v_mov_b32_e32 v9, v5
	s_waitcnt lgkmcnt(2)
	v_pk_mul_f32 v[4:5], v[42:43], v[12:13]
	s_mov_b32 s22, 0xbf4178ce
	v_pk_fma_f32 v[10:11], v[88:89], v[12:13], v[4:5] op_sel:[0,0,1] op_sel_hi:[1,1,0]
	v_pk_fma_f32 v[4:5], v[88:89], v[12:13], v[4:5] op_sel:[0,0,1] op_sel_hi:[1,1,0] neg_lo:[0,0,1] neg_hi:[0,0,1]
	s_mov_b32 s20, 0xbf27a4f4
	v_mov_b32_e32 v11, v5
	v_pk_mul_f32 v[4:5], v[20:21], v[14:15]
	s_mov_b32 s26, 0xbe903f40
	v_pk_fma_f32 v[12:13], v[86:87], v[14:15], v[4:5] op_sel:[0,0,1] op_sel_hi:[1,1,0]
	v_pk_fma_f32 v[4:5], v[86:87], v[14:15], v[4:5] op_sel:[0,0,1] op_sel_hi:[1,1,0] neg_lo:[0,0,1] neg_hi:[0,0,1]
	s_mov_b32 s24, 0xbf75a155
	v_mov_b32_e32 v13, v5
	s_waitcnt lgkmcnt(1)
	v_pk_mul_f32 v[4:5], v[22:23], v[16:17] op_sel:[1,0]
	s_mov_b32 s30, 0x3f7d64f0
	v_pk_fma_f32 v[14:15], v[22:23], v[16:17], v[4:5] op_sel:[0,0,1] op_sel_hi:[1,1,0]
	v_pk_fma_f32 v[4:5], v[22:23], v[16:17], v[4:5] op_sel:[0,0,1] op_sel_hi:[0,1,0] neg_lo:[0,0,1] neg_hi:[0,0,1]
	v_mov_b32_e32 v15, v5
	v_pk_mul_f32 v[4:5], v[28:29], v[18:19]
	s_mov_b32 s34, 0x3f0a6770
	v_pk_fma_f32 v[16:17], v[50:51], v[18:19], v[4:5] op_sel:[0,0,1] op_sel_hi:[1,1,0]
	v_pk_fma_f32 v[4:5], v[50:51], v[18:19], v[4:5] op_sel:[0,0,1] op_sel_hi:[1,1,0] neg_lo:[0,0,1] neg_hi:[0,0,1]
	s_nop 0
	v_mov_b32_e32 v17, v5
	s_waitcnt lgkmcnt(0)
	v_pk_mul_f32 v[4:5], v[30:31], v[32:33]
	v_pk_add_f32 v[28:29], v[34:35], v[16:17]
	v_pk_fma_f32 v[18:19], v[48:49], v[32:33], v[4:5] op_sel:[0,0,1] op_sel_hi:[1,1,0]
	v_pk_fma_f32 v[4:5], v[48:49], v[32:33], v[4:5] op_sel:[0,0,1] op_sel_hi:[1,1,0] neg_lo:[0,0,1] neg_hi:[0,0,1]
	s_nop 0
	v_mov_b32_e32 v19, v5
	v_pk_mul_f32 v[4:5], v[24:25], v[2:3]
	s_nop 0
	v_pk_fma_f32 v[20:21], v[80:81], v[2:3], v[4:5] op_sel:[0,0,1] op_sel_hi:[1,1,0]
	v_pk_fma_f32 v[2:3], v[80:81], v[2:3], v[4:5] op_sel:[0,0,1] op_sel_hi:[1,1,0] neg_lo:[0,0,1] neg_hi:[0,0,1]
	s_nop 0
	v_mov_b32_e32 v21, v3
	v_pk_add_f32 v[2:3], v[0:1], v[20:21]
	v_pk_add_f32 v[4:5], v[20:21], v[18:19]
	;; [unrolled: 1-line block ×3, first 2 shown]
	s_nop 0
	v_pk_add_f32 v[2:3], v[2:3], v[26:27]
	s_nop 0
	v_pk_add_f32 v[2:3], v[2:3], v[6:7]
	;; [unrolled: 2-line block ×7, first 2 shown]
	v_pk_add_f32 v[16:17], v[34:35], v[16:17] neg_lo:[0,1] neg_hi:[0,1]
	v_pk_add_f32 v[2:3], v[2:3], v[18:19]
	v_pk_add_f32 v[18:19], v[20:21], v[18:19] neg_lo:[0,1] neg_hi:[0,1]
	v_pk_mul_f32 v[30:31], v[16:17], s[28:29] op_sel_hi:[1,0]
	v_pk_mul_f32 v[20:21], v[18:19], s[18:19] op_sel_hi:[1,0]
	v_pk_fma_f32 v[32:33], v[28:29], s[2:3], v[30:31] op_sel:[0,0,1] op_sel_hi:[1,0,0]
	v_pk_fma_f32 v[22:23], v[4:5], s[0:1], v[20:21] op_sel:[0,0,1] op_sel_hi:[1,0,0]
	v_pk_fma_f32 v[20:21], v[4:5], s[0:1], v[20:21] op_sel:[0,0,1] op_sel_hi:[1,0,0] neg_lo:[0,0,1] neg_hi:[0,0,1]
	v_mov_b32_e32 v24, v22
	v_mov_b32_e32 v25, v21
	v_pk_fma_f32 v[30:31], v[28:29], s[2:3], v[30:31] op_sel:[0,0,1] op_sel_hi:[1,0,0] neg_lo:[0,0,1] neg_hi:[0,0,1]
	v_pk_add_f32 v[24:25], v[0:1], v[24:25]
	v_mov_b32_e32 v34, v32
	v_mov_b32_e32 v35, v31
	v_pk_add_f32 v[24:25], v[34:35], v[24:25]
	v_pk_add_f32 v[34:35], v[26:27], v[14:15]
	v_pk_add_f32 v[14:15], v[26:27], v[14:15] neg_lo:[0,1] neg_hi:[0,1]
	ds_write_b64 v186, v[2:3]
	v_pk_mul_f32 v[26:27], v[14:15], s[16:17] op_sel_hi:[1,0]
	v_pk_mul_f32 v[2:3], v[18:19], s[28:29] op_sel_hi:[1,0]
	v_pk_fma_f32 v[36:37], v[34:35], s[6:7], v[26:27] op_sel:[0,0,1] op_sel_hi:[1,0,0]
	v_pk_fma_f32 v[26:27], v[34:35], s[6:7], v[26:27] op_sel:[0,0,1] op_sel_hi:[1,0,0] neg_lo:[0,0,1] neg_hi:[0,0,1]
	v_mov_b32_e32 v38, v36
	v_mov_b32_e32 v39, v27
	v_pk_add_f32 v[24:25], v[38:39], v[24:25]
	v_pk_add_f32 v[38:39], v[6:7], v[12:13]
	v_pk_add_f32 v[6:7], v[6:7], v[12:13] neg_lo:[0,1] neg_hi:[0,1]
	v_pk_fma_f32 v[48:49], v[4:5], s[2:3], v[2:3] op_sel:[0,0,1] op_sel_hi:[1,0,0] neg_lo:[0,0,1] neg_hi:[0,0,1]
	v_pk_mul_f32 v[12:13], v[6:7], s[22:23] op_sel_hi:[1,0]
	v_pk_mul_f32 v[50:51], v[16:17], s[22:23] op_sel_hi:[1,0]
	v_pk_fma_f32 v[40:41], v[38:39], s[20:21], v[12:13] op_sel:[0,0,1] op_sel_hi:[1,0,0]
	v_pk_fma_f32 v[12:13], v[38:39], s[20:21], v[12:13] op_sel:[0,0,1] op_sel_hi:[1,0,0] neg_lo:[0,0,1] neg_hi:[0,0,1]
	v_mov_b32_e32 v42, v40
	v_mov_b32_e32 v43, v13
	v_pk_add_f32 v[24:25], v[42:43], v[24:25]
	v_pk_add_f32 v[42:43], v[8:9], v[10:11]
	v_pk_add_f32 v[8:9], v[8:9], v[10:11] neg_lo:[0,1] neg_hi:[0,1]
	v_pk_fma_f32 v[52:53], v[28:29], s[20:21], v[50:51] op_sel:[0,0,1] op_sel_hi:[1,0,0]
	v_pk_mul_f32 v[10:11], v[8:9], s[26:27] op_sel_hi:[1,0]
	v_pk_fma_f32 v[50:51], v[28:29], s[20:21], v[50:51] op_sel:[0,0,1] op_sel_hi:[1,0,0] neg_lo:[0,0,1] neg_hi:[0,0,1]
	v_pk_fma_f32 v[44:45], v[42:43], s[24:25], v[10:11] op_sel:[0,0,1] op_sel_hi:[1,0,0]
	v_pk_fma_f32 v[10:11], v[42:43], s[24:25], v[10:11] op_sel:[0,0,1] op_sel_hi:[1,0,0] neg_lo:[0,0,1] neg_hi:[0,0,1]
	v_mov_b32_e32 v46, v44
	v_mov_b32_e32 v47, v11
	v_pk_add_f32 v[24:25], v[46:47], v[24:25]
	v_pk_fma_f32 v[46:47], v[4:5], s[2:3], v[2:3] op_sel:[0,0,1] op_sel_hi:[1,0,0]
	v_mov_b32_e32 v3, v49
	v_mov_b32_e32 v2, v46
	v_pk_add_f32 v[2:3], v[0:1], v[2:3]
	v_mov_b32_e32 v54, v52
	v_mov_b32_e32 v55, v51
	s_mov_b32 s28, 0x3e903f40
	v_pk_add_f32 v[2:3], v[54:55], v[2:3]
	v_pk_mul_f32 v[54:55], v[14:15], s[28:29] op_sel_hi:[1,0]
	v_pk_mul_f32 v[68:69], v[16:17], s[28:29] op_sel_hi:[1,0]
	v_pk_fma_f32 v[56:57], v[34:35], s[24:25], v[54:55] op_sel:[0,0,1] op_sel_hi:[1,0,0]
	v_pk_fma_f32 v[54:55], v[34:35], s[24:25], v[54:55] op_sel:[0,0,1] op_sel_hi:[1,0,0] neg_lo:[0,0,1] neg_hi:[0,0,1]
	v_mov_b32_e32 v58, v56
	v_mov_b32_e32 v59, v55
	v_pk_add_f32 v[2:3], v[58:59], v[2:3]
	v_pk_mul_f32 v[58:59], v[6:7], s[30:31] op_sel_hi:[1,0]
	v_pk_fma_f32 v[70:71], v[28:29], s[24:25], v[68:69] op_sel:[0,0,1] op_sel_hi:[1,0,0]
	v_pk_fma_f32 v[60:61], v[38:39], s[6:7], v[58:59] op_sel:[0,0,1] op_sel_hi:[1,0,0]
	v_pk_fma_f32 v[58:59], v[38:39], s[6:7], v[58:59] op_sel:[0,0,1] op_sel_hi:[1,0,0] neg_lo:[0,0,1] neg_hi:[0,0,1]
	v_mov_b32_e32 v62, v60
	v_mov_b32_e32 v63, v59
	v_pk_add_f32 v[2:3], v[62:63], v[2:3]
	v_pk_mul_f32 v[62:63], v[8:9], s[34:35] op_sel_hi:[1,0]
	v_pk_fma_f32 v[68:69], v[28:29], s[24:25], v[68:69] op_sel:[0,0,1] op_sel_hi:[1,0,0] neg_lo:[0,0,1] neg_hi:[0,0,1]
	v_pk_fma_f32 v[64:65], v[42:43], s[0:1], v[62:63] op_sel:[0,0,1] op_sel_hi:[1,0,0]
	v_pk_fma_f32 v[62:63], v[42:43], s[0:1], v[62:63] op_sel:[0,0,1] op_sel_hi:[1,0,0] neg_lo:[0,0,1] neg_hi:[0,0,1]
	v_mov_b32_e32 v66, v64
	v_mov_b32_e32 v67, v63
	v_pk_add_f32 v[2:3], v[66:67], v[2:3]
	ds_write2_b64 v186, v[24:25], v[2:3] offset0:65 offset1:130
	v_pk_mul_f32 v[2:3], v[18:19], s[16:17] op_sel_hi:[1,0]
	v_mov_b32_e32 v72, v70
	v_pk_fma_f32 v[24:25], v[4:5], s[6:7], v[2:3] op_sel:[0,0,1] op_sel_hi:[1,0,0]
	v_pk_fma_f32 v[66:67], v[4:5], s[6:7], v[2:3] op_sel:[0,0,1] op_sel_hi:[1,0,0] neg_lo:[0,0,1] neg_hi:[0,0,1]
	v_mov_b32_e32 v2, v24
	v_mov_b32_e32 v3, v67
	v_pk_add_f32 v[2:3], v[0:1], v[2:3]
	v_mov_b32_e32 v73, v69
	s_mov_b32 s28, 0x3f68dda4
	v_pk_add_f32 v[2:3], v[72:73], v[2:3]
	v_pk_mul_f32 v[72:73], v[14:15], s[28:29] op_sel_hi:[1,0]
	v_pk_mul_f32 v[96:97], v[16:17], s[30:31] op_sel_hi:[1,0]
	v_pk_fma_f32 v[80:81], v[34:35], s[2:3], v[72:73] op_sel:[0,0,1] op_sel_hi:[1,0,0]
	v_pk_fma_f32 v[72:73], v[34:35], s[2:3], v[72:73] op_sel:[0,0,1] op_sel_hi:[1,0,0] neg_lo:[0,0,1] neg_hi:[0,0,1]
	v_mov_b32_e32 v82, v80
	v_mov_b32_e32 v83, v73
	v_pk_add_f32 v[2:3], v[82:83], v[2:3]
	v_pk_mul_f32 v[82:83], v[6:7], s[18:19] op_sel_hi:[1,0]
	v_pk_fma_f32 v[98:99], v[28:29], s[6:7], v[96:97] op_sel:[0,0,1] op_sel_hi:[1,0,0]
	v_pk_fma_f32 v[84:85], v[38:39], s[0:1], v[82:83] op_sel:[0,0,1] op_sel_hi:[1,0,0]
	v_pk_fma_f32 v[82:83], v[38:39], s[0:1], v[82:83] op_sel:[0,0,1] op_sel_hi:[1,0,0] neg_lo:[0,0,1] neg_hi:[0,0,1]
	v_mov_b32_e32 v86, v84
	v_mov_b32_e32 v87, v83
	v_pk_add_f32 v[2:3], v[86:87], v[2:3]
	v_pk_mul_f32 v[86:87], v[8:9], s[22:23] op_sel_hi:[1,0]
	v_pk_fma_f32 v[96:97], v[28:29], s[6:7], v[96:97] op_sel:[0,0,1] op_sel_hi:[1,0,0] neg_lo:[0,0,1] neg_hi:[0,0,1]
	v_pk_fma_f32 v[88:89], v[42:43], s[20:21], v[86:87] op_sel:[0,0,1] op_sel_hi:[1,0,0]
	v_pk_fma_f32 v[86:87], v[42:43], s[20:21], v[86:87] op_sel:[0,0,1] op_sel_hi:[1,0,0] neg_lo:[0,0,1] neg_hi:[0,0,1]
	v_mov_b32_e32 v90, v88
	v_mov_b32_e32 v91, v87
	v_pk_add_f32 v[2:3], v[90:91], v[2:3]
	v_pk_mul_f32 v[90:91], v[18:19], s[22:23] op_sel_hi:[1,0]
	v_mov_b32_e32 v100, v98
	v_pk_fma_f32 v[92:93], v[4:5], s[20:21], v[90:91] op_sel:[0,0,1] op_sel_hi:[1,0,0]
	v_pk_fma_f32 v[90:91], v[4:5], s[20:21], v[90:91] op_sel:[0,0,1] op_sel_hi:[1,0,0] neg_lo:[0,0,1] neg_hi:[0,0,1]
	v_mov_b32_e32 v94, v92
	v_mov_b32_e32 v95, v91
	v_pk_add_f32 v[94:95], v[0:1], v[94:95]
	v_mov_b32_e32 v101, v97
	v_pk_add_f32 v[94:95], v[100:101], v[94:95]
	v_pk_mul_f32 v[100:101], v[14:15], s[18:19] op_sel_hi:[1,0]
	v_add_u32_e32 v11, 0x400, v186
	v_pk_fma_f32 v[102:103], v[34:35], s[0:1], v[100:101] op_sel:[0,0,1] op_sel_hi:[1,0,0]
	v_pk_fma_f32 v[100:101], v[34:35], s[0:1], v[100:101] op_sel:[0,0,1] op_sel_hi:[1,0,0] neg_lo:[0,0,1] neg_hi:[0,0,1]
	v_mov_b32_e32 v104, v102
	v_mov_b32_e32 v105, v101
	v_pk_add_f32 v[94:95], v[104:105], v[94:95]
	v_pk_mul_f32 v[104:105], v[6:7], s[26:27] op_sel_hi:[1,0]
	v_pk_mul_f32 v[16:17], v[16:17], s[34:35] op_sel_hi:[1,0]
	v_pk_fma_f32 v[106:107], v[38:39], s[24:25], v[104:105] op_sel:[0,0,1] op_sel_hi:[1,0,0]
	v_pk_fma_f32 v[104:105], v[38:39], s[24:25], v[104:105] op_sel:[0,0,1] op_sel_hi:[1,0,0] neg_lo:[0,0,1] neg_hi:[0,0,1]
	v_mov_b32_e32 v108, v106
	v_mov_b32_e32 v109, v105
	v_pk_add_f32 v[94:95], v[108:109], v[94:95]
	v_pk_mul_f32 v[108:109], v[8:9], s[28:29] op_sel_hi:[1,0]
	v_pk_mul_f32 v[14:15], v[14:15], s[22:23] op_sel_hi:[1,0]
	v_pk_fma_f32 v[110:111], v[42:43], s[2:3], v[108:109] op_sel:[0,0,1] op_sel_hi:[1,0,0]
	v_pk_fma_f32 v[108:109], v[42:43], s[2:3], v[108:109] op_sel:[0,0,1] op_sel_hi:[1,0,0] neg_lo:[0,0,1] neg_hi:[0,0,1]
	v_mov_b32_e32 v112, v110
	v_mov_b32_e32 v113, v109
	v_pk_add_f32 v[94:95], v[112:113], v[94:95]
	ds_write2_b64 v11, v[2:3], v[94:95] offset0:67 offset1:132
	v_pk_mul_f32 v[2:3], v[18:19], s[26:27] op_sel_hi:[1,0]
	v_pk_fma_f32 v[94:95], v[28:29], s[0:1], v[16:17] op_sel:[0,0,1] op_sel_hi:[1,0,0]
	v_pk_fma_f32 v[18:19], v[4:5], s[24:25], v[2:3] op_sel:[0,0,1] op_sel_hi:[1,0,0]
	v_pk_fma_f32 v[2:3], v[4:5], s[24:25], v[2:3] op_sel:[0,0,1] op_sel_hi:[1,0,0] neg_lo:[0,0,1] neg_hi:[0,0,1]
	v_mov_b32_e32 v4, v18
	v_mov_b32_e32 v5, v3
	v_pk_fma_f32 v[16:17], v[28:29], s[0:1], v[16:17] op_sel:[0,0,1] op_sel_hi:[1,0,0] neg_lo:[0,0,1] neg_hi:[0,0,1]
	v_pk_add_f32 v[4:5], v[0:1], v[4:5]
	v_mov_b32_e32 v28, v94
	v_mov_b32_e32 v29, v17
	v_pk_add_f32 v[4:5], v[28:29], v[4:5]
	v_pk_fma_f32 v[28:29], v[34:35], s[20:21], v[14:15] op_sel:[0,0,1] op_sel_hi:[1,0,0]
	v_pk_fma_f32 v[14:15], v[34:35], s[20:21], v[14:15] op_sel:[0,0,1] op_sel_hi:[1,0,0] neg_lo:[0,0,1] neg_hi:[0,0,1]
	v_mov_b32_e32 v34, v28
	v_mov_b32_e32 v35, v15
	v_pk_mul_f32 v[6:7], v[6:7], s[28:29] op_sel_hi:[1,0]
	v_mov_b32_e32 v3, v19
	v_pk_add_f32 v[4:5], v[34:35], v[4:5]
	v_pk_fma_f32 v[34:35], v[38:39], s[2:3], v[6:7] op_sel:[0,0,1] op_sel_hi:[1,0,0]
	v_pk_fma_f32 v[6:7], v[38:39], s[2:3], v[6:7] op_sel:[0,0,1] op_sel_hi:[1,0,0] neg_lo:[0,0,1] neg_hi:[0,0,1]
	v_pk_add_f32 v[2:3], v[0:1], v[2:3]
	v_mov_b32_e32 v17, v95
	v_mov_b32_e32 v38, v34
	;; [unrolled: 1-line block ×3, first 2 shown]
	v_pk_mul_f32 v[8:9], v[8:9], s[16:17] op_sel_hi:[1,0]
	v_pk_add_f32 v[2:3], v[16:17], v[2:3]
	v_mov_b32_e32 v15, v29
	v_pk_add_f32 v[4:5], v[38:39], v[4:5]
	v_pk_fma_f32 v[38:39], v[42:43], s[6:7], v[8:9] op_sel:[0,0,1] op_sel_hi:[1,0,0]
	v_pk_fma_f32 v[8:9], v[42:43], s[6:7], v[8:9] op_sel:[0,0,1] op_sel_hi:[1,0,0] neg_lo:[0,0,1] neg_hi:[0,0,1]
	v_pk_add_f32 v[2:3], v[14:15], v[2:3]
	v_mov_b32_e32 v7, v35
	v_mov_b32_e32 v42, v38
	;; [unrolled: 1-line block ×3, first 2 shown]
	v_pk_add_f32 v[2:3], v[6:7], v[2:3]
	v_mov_b32_e32 v9, v39
	v_pk_add_f32 v[4:5], v[42:43], v[4:5]
	v_pk_add_f32 v[6:7], v[8:9], v[2:3]
	v_add_u32_e32 v2, 0x800, v186
	v_mov_b32_e32 v91, v93
	v_mov_b32_e32 v67, v25
	ds_write2_b64 v2, v[4:5], v[6:7] offset0:69 offset1:134
	v_pk_add_f32 v[4:5], v[0:1], v[90:91]
	v_mov_b32_e32 v97, v99
	v_pk_add_f32 v[6:7], v[0:1], v[66:67]
	v_mov_b32_e32 v69, v71
	;; [unrolled: 2-line block ×8, first 2 shown]
	v_pk_add_f32 v[4:5], v[108:109], v[4:5]
	v_pk_add_f32 v[6:7], v[86:87], v[6:7]
	v_add_u32_e32 v3, 0xc00, v186
	v_mov_b32_e32 v49, v47
	v_mov_b32_e32 v21, v23
	ds_write2_b64 v3, v[4:5], v[6:7] offset0:71 offset1:136
	v_pk_add_f32 v[4:5], v[0:1], v[48:49]
	v_mov_b32_e32 v51, v53
	v_pk_add_f32 v[0:1], v[0:1], v[20:21]
	v_mov_b32_e32 v31, v33
	;; [unrolled: 2-line block ×8, first 2 shown]
	v_pk_add_f32 v[6:7], v[62:63], v[4:5]
	v_pk_add_f32 v[0:1], v[10:11], v[0:1]
	v_add_u32_e32 v4, 0x1000, v186
	ds_write2_b64 v4, v[6:7], v[0:1] offset0:73 offset1:138
	s_waitcnt lgkmcnt(0)
	s_barrier
	s_and_b64 exec, exec, s[4:5]
	s_cbranch_execz .LBB0_23
; %bb.22:
	global_load_dwordx2 v[0:1], v74, s[12:13]
	global_load_dwordx2 v[14:15], v74, s[12:13] offset:440
	global_load_dwordx2 v[16:17], v74, s[12:13] offset:880
	;; [unrolled: 1-line block ×5, first 2 shown]
	v_mov_b32_e32 v75, 0
	v_mad_u64_u32 v[22:23], s[0:1], s10, v76, 0
	v_mad_u64_u32 v[26:27], s[4:5], s8, v78, 0
	v_lshl_add_u64 v[34:35], s[12:13], 0, v[74:75]
	v_mov_b32_e32 v32, v23
	v_mov_b32_e32 v36, v27
	v_add_co_u32_e32 v34, vcc, s3, v34
	v_mad_u64_u32 v[32:33], s[4:5], s11, v76, v[32:33]
	v_mad_u64_u32 v[36:37], s[4:5], s9, v78, v[36:37]
	v_addc_co_u32_e32 v35, vcc, 0, v35, vcc
	ds_read_b64 v[24:25], v186
	ds_read2_b64 v[6:9], v186 offset0:55 offset1:110
	ds_read2_b64 v[10:13], v186 offset0:165 offset1:220
	v_mov_b32_e32 v23, v32
	v_mov_b32_e32 v27, v36
	global_load_dwordx2 v[32:33], v[34:35], off offset:304
	global_load_dwordx2 v[36:37], v[34:35], off offset:744
	global_load_dwordx2 v[38:39], v74, s[12:13] offset:2640
	v_mov_b32_e32 v20, s14
	v_mov_b32_e32 v21, s15
	v_lshl_add_u64 v[20:21], v[22:23], 3, v[20:21]
	s_mov_b32 s0, 0xd118b474
	v_mov_b32_e32 v42, 0x1b8
	v_lshl_add_u64 v[20:21], v[26:27], 3, v[20:21]
	s_mov_b32 s1, 0x3f56ea28
	s_mul_i32 s2, s9, 0x1b8
	v_mad_u64_u32 v[22:23], s[4:5], s8, v42, v[20:21]
	v_add_u32_e32 v23, s2, v23
	v_mad_u64_u32 v[26:27], s[4:5], s8, v42, v[22:23]
	v_add_u32_e32 v27, s2, v27
	s_waitcnt vmcnt(8) lgkmcnt(2)
	v_mul_f32_e32 v5, v25, v1
	v_mul_f32_e32 v1, v24, v1
	v_fmac_f32_e32 v5, v24, v0
	v_fma_f32 v24, v0, v25, -v1
	global_load_dwordx2 v[0:1], v74, s[12:13] offset:3080
	s_waitcnt vmcnt(8) lgkmcnt(1)
	v_mul_f32_e32 v40, v7, v15
	s_waitcnt vmcnt(7)
	v_mul_f32_e32 v41, v9, v17
	v_mul_f32_e32 v17, v8, v17
	s_waitcnt vmcnt(6) lgkmcnt(0)
	v_mul_f32_e32 v43, v11, v19
	v_mul_f32_e32 v19, v10, v19
	v_fmac_f32_e32 v40, v6, v14
	v_fmac_f32_e32 v41, v8, v16
	v_fma_f32 v25, v16, v9, -v17
	v_fmac_f32_e32 v43, v10, v18
	v_fma_f32 v44, v18, v11, -v19
	v_cvt_f64_f32_e32 v[10:11], v40
	v_cvt_f64_f32_e32 v[16:17], v41
	global_load_dwordx2 v[40:41], v74, s[12:13] offset:3520
	v_mul_f32_e32 v15, v6, v15
	v_fma_f32 v14, v14, v7, -v15
	v_cvt_f64_f32_e32 v[6:7], v5
	v_cvt_f64_f32_e32 v[8:9], v24
	;; [unrolled: 1-line block ×4, first 2 shown]
	v_mul_f64 v[6:7], v[6:7], s[0:1]
	v_mul_f64 v[8:9], v[8:9], s[0:1]
	v_mul_f64 v[10:11], v[10:11], s[0:1]
	v_mul_f64 v[14:15], v[14:15], s[0:1]
	v_mul_f64 v[16:17], v[16:17], s[0:1]
	v_mul_f64 v[18:19], v[18:19], s[0:1]
	v_cvt_f32_f64_e32 v6, v[6:7]
	v_cvt_f32_f64_e32 v7, v[8:9]
	;; [unrolled: 1-line block ×6, first 2 shown]
	global_store_dwordx2 v[20:21], v[6:7], off
	global_store_dwordx2 v[22:23], v[8:9], off
	;; [unrolled: 1-line block ×3, first 2 shown]
	global_load_dwordx2 v[10:11], v74, s[12:13] offset:3960
	v_cvt_f64_f32_e32 v[6:7], v44
	s_waitcnt vmcnt(10)
	v_mul_f32_e32 v5, v13, v29
	v_cvt_f64_f32_e32 v[24:25], v43
	v_mul_f64 v[6:7], v[6:7], s[0:1]
	v_fmac_f32_e32 v5, v12, v28
	v_mul_f64 v[24:25], v[24:25], s[0:1]
	v_cvt_f32_f64_e32 v15, v[6:7]
	v_mad_u64_u32 v[16:17], s[4:5], s8, v42, v[26:27]
	v_cvt_f64_f32_e32 v[6:7], v5
	v_mul_f32_e32 v5, v12, v29
	v_cvt_f32_f64_e32 v14, v[24:25]
	v_add_u32_e32 v17, s2, v17
	v_mul_f64 v[6:7], v[6:7], s[0:1]
	v_fma_f32 v5, v28, v13, -v5
	global_store_dwordx2 v[16:17], v[14:15], off
	v_cvt_f32_f64_e32 v14, v[6:7]
	v_cvt_f64_f32_e32 v[6:7], v5
	v_mul_f64 v[6:7], v[6:7], s[0:1]
	v_cvt_f32_f64_e32 v15, v[6:7]
	ds_read2_b64 v[6:9], v2 offset0:19 offset1:74
	v_mad_u64_u32 v[12:13], s[4:5], s8, v42, v[16:17]
	v_add_u32_e32 v13, s2, v13
	global_store_dwordx2 v[12:13], v[14:15], off
	s_waitcnt vmcnt(11) lgkmcnt(0)
	v_mul_f32_e32 v5, v7, v31
	v_fmac_f32_e32 v5, v6, v30
	v_cvt_f64_f32_e32 v[14:15], v5
	v_mul_f32_e32 v5, v6, v31
	v_fma_f32 v5, v30, v7, -v5
	v_cvt_f64_f32_e32 v[6:7], v5
	s_waitcnt vmcnt(8)
	v_mul_f32_e32 v5, v9, v39
	v_mul_f64 v[14:15], v[14:15], s[0:1]
	v_mul_f64 v[6:7], v[6:7], s[0:1]
	v_fmac_f32_e32 v5, v8, v38
	v_cvt_f32_f64_e32 v14, v[14:15]
	v_cvt_f32_f64_e32 v15, v[6:7]
	v_mad_u64_u32 v[12:13], s[4:5], s8, v42, v[12:13]
	v_cvt_f64_f32_e32 v[6:7], v5
	v_mul_f32_e32 v5, v8, v39
	v_add_u32_e32 v13, s2, v13
	v_mul_f64 v[6:7], v[6:7], s[0:1]
	v_fma_f32 v5, v38, v9, -v5
	global_store_dwordx2 v[12:13], v[14:15], off
	v_cvt_f32_f64_e32 v14, v[6:7]
	v_cvt_f64_f32_e32 v[6:7], v5
	v_mul_f64 v[6:7], v[6:7], s[0:1]
	v_cvt_f32_f64_e32 v15, v[6:7]
	ds_read2_b64 v[6:9], v2 offset0:129 offset1:184
	v_mad_u64_u32 v[12:13], s[4:5], s8, v42, v[12:13]
	v_add_u32_e32 v13, s2, v13
	global_store_dwordx2 v[12:13], v[14:15], off
	s_waitcnt vmcnt(9) lgkmcnt(0)
	v_mul_f32_e32 v2, v7, v1
	v_mul_f32_e32 v1, v6, v1
	v_fmac_f32_e32 v2, v6, v0
	v_fma_f32 v0, v0, v7, -v1
	v_cvt_f64_f32_e32 v[14:15], v2
	v_cvt_f64_f32_e32 v[0:1], v0
	v_mul_f64 v[14:15], v[14:15], s[0:1]
	v_mul_f64 v[0:1], v[0:1], s[0:1]
	v_cvt_f32_f64_e32 v14, v[14:15]
	v_cvt_f32_f64_e32 v15, v[0:1]
	s_waitcnt vmcnt(8)
	v_mul_f32_e32 v0, v9, v41
	v_fmac_f32_e32 v0, v8, v40
	v_cvt_f64_f32_e32 v[0:1], v0
	v_mul_f64 v[0:1], v[0:1], s[0:1]
	v_mad_u64_u32 v[6:7], s[4:5], s8, v42, v[12:13]
	v_cvt_f32_f64_e32 v12, v[0:1]
	v_mul_f32_e32 v0, v8, v41
	v_fma_f32 v0, v40, v9, -v0
	v_cvt_f64_f32_e32 v[0:1], v0
	v_mul_f64 v[0:1], v[0:1], s[0:1]
	v_cvt_f32_f64_e32 v13, v[0:1]
	ds_read2_b64 v[0:3], v3 offset0:111 offset1:166
	v_add_u32_e32 v7, s2, v7
	global_store_dwordx2 v[6:7], v[14:15], off
	v_mad_u64_u32 v[6:7], s[4:5], s8, v42, v[6:7]
	s_waitcnt vmcnt(5) lgkmcnt(0)
	v_mul_f32_e32 v5, v1, v11
	v_fmac_f32_e32 v5, v0, v10
	v_mul_f32_e32 v0, v0, v11
	v_fma_f32 v0, v10, v1, -v0
	v_cvt_f64_f32_e32 v[8:9], v5
	v_cvt_f64_f32_e32 v[0:1], v0
	v_mul_f64 v[8:9], v[8:9], s[0:1]
	v_mul_f64 v[0:1], v[0:1], s[0:1]
	v_cvt_f32_f64_e32 v8, v[8:9]
	v_cvt_f32_f64_e32 v9, v[0:1]
	v_mul_f32_e32 v0, v3, v33
	v_add_u32_e32 v7, s2, v7
	v_fmac_f32_e32 v0, v2, v32
	global_store_dwordx2 v[6:7], v[12:13], off
	v_mad_u64_u32 v[6:7], s[4:5], s8, v42, v[6:7]
	v_cvt_f64_f32_e32 v[0:1], v0
	v_add_u32_e32 v7, s2, v7
	v_mul_f64 v[0:1], v[0:1], s[0:1]
	global_store_dwordx2 v[6:7], v[8:9], off
	v_cvt_f32_f64_e32 v8, v[0:1]
	v_mul_f32_e32 v0, v2, v33
	v_fma_f32 v0, v32, v3, -v0
	v_cvt_f64_f32_e32 v[0:1], v0
	v_mul_f64 v[0:1], v[0:1], s[0:1]
	v_cvt_f32_f64_e32 v9, v[0:1]
	ds_read2_b64 v[0:3], v4 offset0:93 offset1:148
	v_mad_u64_u32 v[4:5], s[4:5], s8, v42, v[6:7]
	v_add_u32_e32 v5, s2, v5
	global_store_dwordx2 v[4:5], v[8:9], off
	s_waitcnt lgkmcnt(0)
	v_mul_f32_e32 v6, v1, v37
	v_fmac_f32_e32 v6, v0, v36
	v_mul_f32_e32 v0, v0, v37
	v_fma_f32 v0, v36, v1, -v0
	v_cvt_f64_f32_e32 v[6:7], v6
	v_cvt_f64_f32_e32 v[0:1], v0
	v_mul_f64 v[6:7], v[6:7], s[0:1]
	v_mul_f64 v[0:1], v[0:1], s[0:1]
	v_cvt_f32_f64_e32 v6, v[6:7]
	v_cvt_f32_f64_e32 v7, v[0:1]
	v_mad_u64_u32 v[0:1], s[4:5], s8, v42, v[4:5]
	v_add_u32_e32 v1, s2, v1
	global_store_dwordx2 v[0:1], v[6:7], off
	global_load_dwordx2 v[4:5], v[34:35], off offset:1184
	s_waitcnt vmcnt(0)
	v_mul_f32_e32 v6, v3, v5
	v_fmac_f32_e32 v6, v2, v4
	v_mul_f32_e32 v2, v2, v5
	v_fma_f32 v2, v4, v3, -v2
	v_cvt_f64_f32_e32 v[6:7], v6
	v_cvt_f64_f32_e32 v[2:3], v2
	v_mul_f64 v[6:7], v[6:7], s[0:1]
	v_mul_f64 v[2:3], v[2:3], s[0:1]
	v_mad_u64_u32 v[0:1], s[0:1], s8, v42, v[0:1]
	v_cvt_f32_f64_e32 v6, v[6:7]
	v_cvt_f32_f64_e32 v7, v[2:3]
	v_add_u32_e32 v1, s2, v1
	global_store_dwordx2 v[0:1], v[6:7], off
.LBB0_23:
	s_endpgm
	.section	.rodata,"a",@progbits
	.p2align	6, 0x0
	.amdhsa_kernel bluestein_single_back_len715_dim1_sp_op_CI_CI
		.amdhsa_group_segment_fixed_size 17160
		.amdhsa_private_segment_fixed_size 0
		.amdhsa_kernarg_size 104
		.amdhsa_user_sgpr_count 2
		.amdhsa_user_sgpr_dispatch_ptr 0
		.amdhsa_user_sgpr_queue_ptr 0
		.amdhsa_user_sgpr_kernarg_segment_ptr 1
		.amdhsa_user_sgpr_dispatch_id 0
		.amdhsa_user_sgpr_kernarg_preload_length 0
		.amdhsa_user_sgpr_kernarg_preload_offset 0
		.amdhsa_user_sgpr_private_segment_size 0
		.amdhsa_uses_dynamic_stack 0
		.amdhsa_enable_private_segment 0
		.amdhsa_system_sgpr_workgroup_id_x 1
		.amdhsa_system_sgpr_workgroup_id_y 0
		.amdhsa_system_sgpr_workgroup_id_z 0
		.amdhsa_system_sgpr_workgroup_info 0
		.amdhsa_system_vgpr_workitem_id 0
		.amdhsa_next_free_vgpr 224
		.amdhsa_next_free_sgpr 52
		.amdhsa_accum_offset 224
		.amdhsa_reserve_vcc 1
		.amdhsa_float_round_mode_32 0
		.amdhsa_float_round_mode_16_64 0
		.amdhsa_float_denorm_mode_32 3
		.amdhsa_float_denorm_mode_16_64 3
		.amdhsa_dx10_clamp 1
		.amdhsa_ieee_mode 1
		.amdhsa_fp16_overflow 0
		.amdhsa_tg_split 0
		.amdhsa_exception_fp_ieee_invalid_op 0
		.amdhsa_exception_fp_denorm_src 0
		.amdhsa_exception_fp_ieee_div_zero 0
		.amdhsa_exception_fp_ieee_overflow 0
		.amdhsa_exception_fp_ieee_underflow 0
		.amdhsa_exception_fp_ieee_inexact 0
		.amdhsa_exception_int_div_zero 0
	.end_amdhsa_kernel
	.text
.Lfunc_end0:
	.size	bluestein_single_back_len715_dim1_sp_op_CI_CI, .Lfunc_end0-bluestein_single_back_len715_dim1_sp_op_CI_CI
                                        ; -- End function
	.section	.AMDGPU.csdata,"",@progbits
; Kernel info:
; codeLenInByte = 15840
; NumSgprs: 58
; NumVgprs: 224
; NumAgprs: 0
; TotalNumVgprs: 224
; ScratchSize: 0
; MemoryBound: 0
; FloatMode: 240
; IeeeMode: 1
; LDSByteSize: 17160 bytes/workgroup (compile time only)
; SGPRBlocks: 7
; VGPRBlocks: 27
; NumSGPRsForWavesPerEU: 58
; NumVGPRsForWavesPerEU: 224
; AccumOffset: 224
; Occupancy: 2
; WaveLimiterHint : 1
; COMPUTE_PGM_RSRC2:SCRATCH_EN: 0
; COMPUTE_PGM_RSRC2:USER_SGPR: 2
; COMPUTE_PGM_RSRC2:TRAP_HANDLER: 0
; COMPUTE_PGM_RSRC2:TGID_X_EN: 1
; COMPUTE_PGM_RSRC2:TGID_Y_EN: 0
; COMPUTE_PGM_RSRC2:TGID_Z_EN: 0
; COMPUTE_PGM_RSRC2:TIDIG_COMP_CNT: 0
; COMPUTE_PGM_RSRC3_GFX90A:ACCUM_OFFSET: 55
; COMPUTE_PGM_RSRC3_GFX90A:TG_SPLIT: 0
	.text
	.p2alignl 6, 3212836864
	.fill 256, 4, 3212836864
	.type	__hip_cuid_bf96788eb10fcdd4,@object ; @__hip_cuid_bf96788eb10fcdd4
	.section	.bss,"aw",@nobits
	.globl	__hip_cuid_bf96788eb10fcdd4
__hip_cuid_bf96788eb10fcdd4:
	.byte	0                               ; 0x0
	.size	__hip_cuid_bf96788eb10fcdd4, 1

	.ident	"AMD clang version 19.0.0git (https://github.com/RadeonOpenCompute/llvm-project roc-6.4.0 25133 c7fe45cf4b819c5991fe208aaa96edf142730f1d)"
	.section	".note.GNU-stack","",@progbits
	.addrsig
	.addrsig_sym __hip_cuid_bf96788eb10fcdd4
	.amdgpu_metadata
---
amdhsa.kernels:
  - .agpr_count:     0
    .args:
      - .actual_access:  read_only
        .address_space:  global
        .offset:         0
        .size:           8
        .value_kind:     global_buffer
      - .actual_access:  read_only
        .address_space:  global
        .offset:         8
        .size:           8
        .value_kind:     global_buffer
      - .actual_access:  read_only
        .address_space:  global
        .offset:         16
        .size:           8
        .value_kind:     global_buffer
      - .actual_access:  read_only
        .address_space:  global
        .offset:         24
        .size:           8
        .value_kind:     global_buffer
      - .actual_access:  read_only
        .address_space:  global
        .offset:         32
        .size:           8
        .value_kind:     global_buffer
      - .offset:         40
        .size:           8
        .value_kind:     by_value
      - .address_space:  global
        .offset:         48
        .size:           8
        .value_kind:     global_buffer
      - .address_space:  global
        .offset:         56
        .size:           8
        .value_kind:     global_buffer
      - .address_space:  global
        .offset:         64
        .size:           8
        .value_kind:     global_buffer
      - .address_space:  global
        .offset:         72
        .size:           8
        .value_kind:     global_buffer
      - .offset:         80
        .size:           4
        .value_kind:     by_value
      - .address_space:  global
        .offset:         88
        .size:           8
        .value_kind:     global_buffer
      - .address_space:  global
        .offset:         96
        .size:           8
        .value_kind:     global_buffer
    .group_segment_fixed_size: 17160
    .kernarg_segment_align: 8
    .kernarg_segment_size: 104
    .language:       OpenCL C
    .language_version:
      - 2
      - 0
    .max_flat_workgroup_size: 195
    .name:           bluestein_single_back_len715_dim1_sp_op_CI_CI
    .private_segment_fixed_size: 0
    .sgpr_count:     58
    .sgpr_spill_count: 0
    .symbol:         bluestein_single_back_len715_dim1_sp_op_CI_CI.kd
    .uniform_work_group_size: 1
    .uses_dynamic_stack: false
    .vgpr_count:     224
    .vgpr_spill_count: 0
    .wavefront_size: 64
amdhsa.target:   amdgcn-amd-amdhsa--gfx950
amdhsa.version:
  - 1
  - 2
...

	.end_amdgpu_metadata
